;; amdgpu-corpus repo=ROCm/rocm-libraries kind=harvested arch=n/a opt=n/a

/******************************************/
/* Begin Kernel                           */
/******************************************/
.amdgcn_target "amdgcn-amd-amdhsa--gfx942"
.text
.protected Custom_Cijk_Ailk_Bljk_HSS_BH_Bias_GG_AS_SAV_UserArgs_shortname13_gfx942
.globl Custom_Cijk_Ailk_Bljk_HSS_BH_Bias_GG_AS_SAV_UserArgs_shortname13_gfx942
.p2align 8
.type Custom_Cijk_Ailk_Bljk_HSS_BH_Bias_GG_AS_SAV_UserArgs_shortname13_gfx942,@function
.section .rodata,#alloc
.p2align 6
.amdhsa_kernel Custom_Cijk_Ailk_Bljk_HSS_BH_Bias_GG_AS_SAV_UserArgs_shortname13_gfx942
  .amdhsa_user_sgpr_kernarg_segment_ptr 1
  .amdhsa_accum_offset 256 // accvgpr offset
  .amdhsa_next_free_vgpr 512 // vgprs
  .amdhsa_next_free_sgpr 102 // sgprs
  .amdhsa_group_segment_fixed_size 65536 // lds bytes
  .amdhsa_private_segment_fixed_size 0
  .amdhsa_system_sgpr_workgroup_id_x 1
  .amdhsa_system_sgpr_workgroup_id_y 1
  .amdhsa_system_sgpr_workgroup_id_z 1
  .amdhsa_system_vgpr_workitem_id 0
  .amdhsa_float_denorm_mode_32 3
  .amdhsa_float_denorm_mode_16_64 3
  .amdhsa_user_sgpr_count 13
  .amdhsa_user_sgpr_kernarg_preload_length 11
  .amdhsa_user_sgpr_kernarg_preload_offset 0
.end_amdhsa_kernel
.text
/* Num VGPR   =192 */
/* Num AccVGPR=320 */
/* Num SGPR   =85 */

/******************************************/
/* Optimizations and Config:              */
/******************************************/
/* ThreadTile= 16 x 20 */
/* SubGroup= 16 x 16 */
/* VectorWidthA=4 */
/* VectorWidthB=1 */
/* GlobalReadVectorWidthA=4, GlobalReadVectorWidthB=4 */
/* DirectToLdsA=False */
/* DirectToLdsB=False */
/* UseSgprForGRO=1 */
.amdgpu_metadata
---
custom.config:
   ProblemType:
      OperationType: GEMM
      DataType: h
      DestDataType: s
      ComputeDataType: s
      HighPrecisionAccumulate: True
      TransposeA: False
      TransposeB: False
      UseBias: 1
      Activation: True
      UseScaleAlphaVec: 1
      UseBeta: True
      Batched: True
      GroupedGemm:   True
      SupportUserArgs: True
   EnableF32XdlMathOp: False
   EnableMatrixInstruction: True
   MFMA_BF16_1K: False
   MIBlock: [16, 16, 16, 1, 1, 1]
   MIInputPerThread: 4
   MIInputPerThreadA: 4
   MIInputPerThreadB: 4
   MIInputPerThreadMetadata: 4
   MIWaveGroup: [4, 1]
   MIWaveTile: [4, 20]
   MatrixInstB: 1
   MatrixInstBM: 1
   MatrixInstBN: 1
   MatrixInstK: 16
   MatrixInstM: 16
   MatrixInstN: 16
   MatrixInstruction: [16, 16, 16, 1]
   Sparse: 0
   ThreadTile: [1, 1]
   WavefrontSize: 64
   WorkGroup: [64, 4, 1]
   1LDSBuffer: 1
   ScheduleIterAlg: 3
   DepthU: 32
   StaggerU: 0
   WorkGroupMapping: 1
   WaveSeparateGlobalReadA: 1
   WaveSeparateGlobalReadB: 1
   GlobalReadVectorWidthA: 4
   GlobalReadVectorWidthB: 4
   AssertFree0ElementMultiple: 4
   AssertSummationElementMultiple: 1
   InternalSupportParams:
      KernArgsVersion: 0
      SupportUserGSU: False
      SupportCustomWGM: False
      SupportCustomStaggerU: False
      UseUniversalArgs: False
amdhsa.version:
  - 1
  - 1
amdhsa.kernels:
  - .name: Custom_Cijk_Ailk_Bljk_HSS_BH_Bias_GG_AS_SAV_UserArgs_shortname13_gfx942
    .symbol: 'Custom_Cijk_Ailk_Bljk_HSS_BH_Bias_GG_AS_SAV_UserArgs_shortname13_gfx942.kd'
    .language:                   OpenCL C
    .language_version:
      - 2
      - 0
    .args:
      - .name:            SizesFree0
        .size:            4
        .offset:          0
        .value_kind:      by_value
        .value_type:      u32
      - .name:            SizesFree1
        .size:            4
        .offset:          4
        .value_kind:      by_value
        .value_type:      u32
      - .name:            SizesFree2
        .size:            4
        .offset:          8
        .value_kind:      by_value
        .value_type:      u32
      - .name:            SizesSum0
        .size:            4
        .offset:          12
        .value_kind:      by_value
        .value_type:      u32
      - .name:            D
        .size:            8
        .offset:          16
        .value_kind:      global_buffer
        .value_type:      f16
        .address_space:   generic
      - .name:            C
        .size:            8
        .offset:          24
        .value_kind:      global_buffer
        .value_type:      f16
        .address_space:   generic
      - .name:            A
        .size:            8
        .offset:          32
        .value_kind:      global_buffer
        .value_type:      f16
        .address_space:   generic
      - .name:            B
        .size:            8
        .offset:          40
        .value_kind:      global_buffer
        .value_type:      f16
        .address_space:   generic
      - .name:            strideD0
        .size:            4
        .offset:          48
        .value_kind:      by_value
        .value_type:      u32
      - .name:            strideD1
        .size:            4
        .offset:          52
        .value_kind:      by_value
        .value_type:      u32
      - .name:            strideC0
        .size:            4
        .offset:          56
        .value_kind:      by_value
        .value_type:      u32
      - .name:            strideC1
        .size:            4
        .offset:          60
        .value_kind:      by_value
        .value_type:      u32
      - .name:            strideA0
        .size:            4
        .offset:          64
        .value_kind:      by_value
        .value_type:      u32
      - .name:            strideA1
        .size:            4
        .offset:          68
        .value_kind:      by_value
        .value_type:      u32
      - .name:            strideB0
        .size:            4
        .offset:          72
        .value_kind:      by_value
        .value_type:      u32
      - .name:            strideB1
        .size:            4
        .offset:          76
        .value_kind:      by_value
        .value_type:      u32
      - .name:            alpha
        .size:            4
        .offset:          80
        .value_kind:      by_value
        .value_type:      f32
      - .name:            beta
        .size:            4
        .offset:          84
        .value_kind:      by_value
        .value_type:      f32
      - .name:            AddressScaleAlphaVec
        .size:            8
        .offset:          88
        .value_kind:      global_buffer
        .value_type:      f32
        .address_space:   generic
      - .name:            bias
        .size:            8
        .offset:          96
        .value_kind:      global_buffer
        .value_type:      void
        .address_space:   generic
      - .name:            biasType
        .size:            4
        .offset:          104
        .value_kind:      by_value
        .value_type:      u32
      - .name:            StrideBias
        .size:            4
        .offset:          108
        .value_kind:      by_value
        .value_type:      u32
      - .name:            activationAlpha
        .size:            4
        .offset:          112
        .value_kind:      by_value
        .value_type:      f32
      - .name:            activationBeta
        .size:            4
        .offset:          116
        .value_kind:      by_value
        .value_type:      f32
      - .name:            activationType
        .size:            4
        .offset:          120
        .value_kind:      by_value
        .value_type:      u32
    .group_segment_fixed_size:   38144
    .kernarg_segment_align:      8
    .kernarg_segment_size:       128
    .max_flat_workgroup_size:    256
    .private_segment_fixed_size: 0
    .sgpr_count:                 85
    .sgpr_spill_count:           0
    .vgpr_count:                 192
    .vgpr_spill_count:           0
    .wavefront_size:             64
...
.end_amdgpu_metadata
Custom_Cijk_Ailk_Bljk_HSS_BH_Bias_GG_AS_SAV_UserArgs_shortname13_gfx942:
.long 0xC00206C0, 0x00000000
.long 0xC0020B80, 0x00000018
	;; [unrolled: 1-line block ×4, first 2 shown]
.long 0xBF8CC07F
.long 0xBF82003D
	;; [unrolled: 1-line block ×63, first 2 shown]
.long 0xBEBC00FF, 0x05040100
.long 0xBEBD00FF, 0x07060302
	;; [unrolled: 1-line block ×3, first 2 shown]
.long 0x7F240300
.long 0xBE82000D
	;; [unrolled: 1-line block ×6, first 2 shown]
.long 0xBE9A00FF, 0x0000007C
.long 0x9216841B
.long 0xBE900100
.long 0xBF820004
.long 0xBE9A00FF, 0x000000C4
.long 0xBE960080
.long 0xBE900106
.long 0xBE980081
.long 0xBE970080
.long 0xC0080308, 0x00000016
.long 0xB41B0001
	;; [unrolled: 5-line block ×3, first 2 shown]
.long 0xBE930080
.long 0x92120DFF, 0x00000199
.long 0x8E929012
.long 0x9215FF0D, 0x0000999A
.long 0x80121215
.long 0x82138013
	;; [unrolled: 1-line block ×3, first 2 shown]
.long 0x9213FF12, 0x00000140
.long 0xBF070D13
.long 0x82158012
	;; [unrolled: 1-line block ×9, first 2 shown]
.long 0xC0080308, 0x00000016
.long 0x80188118
.long 0xBF0A1B18
	;; [unrolled: 1-line block ×5, first 2 shown]
.long 0x86120CFF, 0x000000FF
.long 0x82148014
.long 0xBE930080
.long 0x92120DFF, 0x00000199
.long 0x8E929012
.long 0x9215FF0D, 0x0000999A
.long 0x80121215
.long 0x82138013
	;; [unrolled: 1-line block ×3, first 2 shown]
.long 0x9213FF12, 0x00000140
.long 0xBF070D13
.long 0x82158012
	;; [unrolled: 1-line block ×13, first 2 shown]
.long 0x920BFF0B, 0x0000007C
.long 0x80000B00
.long 0x82018001
.long 0xC0120600, 0x00000000
.long 0xC00A0A00, 0x00000040
	;; [unrolled: 1-line block ×3, first 2 shown]
.long 0xBF82000C
.long 0x920BFF0B, 0x000000C4
.long 0x80060B06
.long 0x82078007
.long 0xC0120603, 0x00000000
.long 0xC00A0A03, 0x00000040
	;; [unrolled: 1-line block ×4, first 2 shown]
.long 0x260324BF
.long 0x2600028F
	;; [unrolled: 1-line block ×27, first 2 shown]
.long 0xBE8F00FF, 0x00000140
.long 0xD2850000, 0x0002000F
	;; [unrolled: 1-line block ×3, first 2 shown]
.long 0x20052287
.long 0x24040483
	;; [unrolled: 1-line block ×3, first 2 shown]
.long 0x332322FF, 0x00004000
.long 0x260924BF
.long 0x20020886
	;; [unrolled: 1-line block ×14, first 2 shown]
.long 0x920FFF0F, 0x00000050
.long 0x6804040F
.long 0x24060682
.long 0x7E0A0303
.long 0x10D204A0
.long 0xD1FE0069, 0x0206D305
.long 0x200CD287
.long 0x240C0C83
	;; [unrolled: 1-line block ×3, first 2 shown]
.long 0x32D2D2FF, 0x00004000
.long 0xBF8CC07F
.long 0x7E1002FF, 0x00000100
.long 0x7E0E0218
.long 0x7E0C0D08
	;; [unrolled: 1-line block ×8, first 2 shown]
.long 0xD0CD006A, 0x00010109
.long 0xD11C6A06, 0x01A90106
	;; [unrolled: 1-line block ×3, first 2 shown]
.long 0x7E0E0219
.long 0x7E1A0506
	;; [unrolled: 1-line block ×9, first 2 shown]
.long 0xD0CD006A, 0x00010109
.long 0xD11C6A06, 0x01A90106
.long 0xBF800000
.long 0x7E1C0506
	;; [unrolled: 1-line block ×12, first 2 shown]
.long 0xD1080007, 0x00009D06
.long 0x6A0E0E02
.long 0xD0DA007E, 0x00009D07
.long 0x680C0C81
.long 0xBEFE01C1
	;; [unrolled: 1-line block ×13, first 2 shown]
.long 0xD1080007, 0x00001B06
.long 0x6A0E0E02
.long 0xD0DA007E, 0x00001B07
.long 0x680C0C81
.long 0xBEFE01C1
	;; [unrolled: 1-line block ×13, first 2 shown]
.long 0xD042006A, 0x0001002C
.long 0xBF860001
.long 0xBE9B0080
	;; [unrolled: 1-line block ×9, first 2 shown]
.long 0xD1080007, 0x00005D06
.long 0x6A0E0E03
.long 0xD0DA007E, 0x00005D07
.long 0x680C0C81
.long 0x7E0E0280
	;; [unrolled: 1-line block ×11, first 2 shown]
.long 0xBED200FF, 0x10000001
.long 0x964F5203
.long 0x924E5203
	;; [unrolled: 1-line block ×21, first 2 shown]
.long 0xD1080007, 0x0000A106
.long 0x6A0E0E4F
.long 0xD0DA007E, 0x0000A107
.long 0x680C0C81
.long 0x7E0E0280
	;; [unrolled: 1-line block ×16, first 2 shown]
.long 0xD2850001, 0x00020284
.long 0xD2850001, 0x00020228
.long 0x68000101
.long 0x20032486
	;; [unrolled: 1-line block ×4, first 2 shown]
.long 0xD1FE006A, 0x02060101
.long 0x68D4D488
.long 0x923E8128
	;; [unrolled: 1-line block ×15, first 2 shown]
.long 0xD2850006, 0x0002042A
.long 0x32D60D03
.long 0x68D6D684
	;; [unrolled: 1-line block ×19, first 2 shown]
.long 0x924DFF2A, 0x00000048
.long 0x8E4D814D
.long 0x9651FF02, 0x00000100
.long 0x9250FF02, 0x00000100
.long 0x964F08A0
.long 0x924E08A0
	;; [unrolled: 1-line block ×32, first 2 shown]
.long 0xBEB300FF, 0x00020000
.long 0x9651FF03, 0x00000140
	;; [unrolled: 1-line block ×3, first 2 shown]
.long 0x96512A50
.long 0x92502A50
	;; [unrolled: 1-line block ×32, first 2 shown]
.long 0xBEB700FF, 0x00020000
.long 0x924EC02E
.long 0x920F284E
	;; [unrolled: 1-line block ×12, first 2 shown]
.long 0xD1080001, 0x00005D00
.long 0x6A02020B
.long 0xD0DA007E, 0x00005D01
.long 0x68000081
.long 0x7E020280
	;; [unrolled: 1-line block ×11, first 2 shown]
.long 0xE0541000, 0x800C6C6A
.long 0xE0541000, 0x3E0C6E6A
	;; [unrolled: 1-line block ×18, first 2 shown]
.long 0x80300F30
.long 0x82318031
	;; [unrolled: 1-line block ×14, first 2 shown]
.long 0xBE9200FF, 0x80000000
.long 0xBE9300FF, 0x00020000
.long 0xBE94001E
.long 0xBE95001F
.long 0xBE9600FF, 0x80000000
.long 0xBE9700FF, 0x00020000
	;; [unrolled: 1-line block ×3, first 2 shown]
.long 0x964F2650
.long 0x924E2650
.long 0x8ECE054E
.long 0x80144E1E
.long 0x82154F1F
.long 0x964F2450
.long 0x924E2450
.long 0x8ECE0A4E
.long 0x80104E1C
.long 0x82114F1D
.long 0x964F2704
.long 0x924E2704
.long 0x8ECE054E
.long 0x80144E14
.long 0x82154F15
.long 0x964F2504
.long 0x924E2504
.long 0x8ECE0A4E
.long 0x80104E10
.long 0x82114F11
.long 0xBF06812E
.long 0xBF850011
.long 0x964F0818
.long 0x924E0818
.long 0x80D28119
.long 0x92520852
.long 0x96512652
.long 0x92502652
.long 0x804E504E
.long 0x824F514F
.long 0x80D2811A
.long 0x92520852
.long 0x96512752
.long 0x92502752
.long 0x804E504E
.long 0x824F514F
.long 0x8ECE824E
.long 0x80104E10
.long 0x82114F11
.long 0xD3D94000, 0x18000080
.long 0xD3D94001, 0x18000080
	;; [unrolled: 1-line block ×256, first 2 shown]
.long 0x7F800280
.long 0x7F820280
	;; [unrolled: 1-line block ×67, first 2 shown]
.long 0x815084FF, 0x0000517C
.long 0x804E504E
.long 0x824F804F
	;; [unrolled: 1-line block ×12, first 2 shown]
.long 0xD89A0000, 0x00007C69
.long 0xD89A0220, 0x00007E69
	;; [unrolled: 1-line block ×10, first 2 shown]
.long 0xBF06810B
.long 0xBF850024
.long 0xE0541000, 0x800C6C6A
.long 0xE0541000, 0x3E0C6E6A
	;; [unrolled: 1-line block ×18, first 2 shown]
.long 0xBF8CC07F
.long 0xBF8A0000
.long 0xD8EC0000, 0x18000091
.long 0xD8EC0440, 0x1A000091
	;; [unrolled: 1-line block ×28, first 2 shown]
.long 0xBF06810B
.long 0xBF850407
.long 0xBF0B820B
.long 0xBF850216
.long 0xBF8CC07F
.long 0xD3CD8000, 0x04020118
.long 0x80300F30
.long 0xD3CD8004, 0x04120518
.long 0x82318031
.long 0xD3CD8008, 0x04220918
.long 0x80B80F38
.long 0xD3CD800C, 0x04320D18
.long 0x82B98039
.long 0xD3CD8010, 0x0442011A
.long 0xD8EC0020, 0x40000091
.long 0xBF068039
.long 0xD3CD8014, 0x0452051A
.long 0xD8EC0460, 0x42000091
.long 0xBEB20238
	;; [unrolled: 3-line block ×8, first 2 shown]
.long 0xD3CD8030, 0x04C2011E
.long 0xD8EC2220, 0x50000091
	;; [unrolled: 1-line block ×41, first 2 shown]
.long 0xBF8CC07F
.long 0xBF8A0000
.long 0xD3CD8084, 0x06120528
.long 0xBF8C4F71
.long 0x7E10716C
.long 0xD3CD8088, 0x06220928
.long 0xE0541000, 0x800C6C6A
.long 0xD3CD808C, 0x06320D28
.long 0xD3CD8090, 0x0642012A
.long 0xD3CD8094, 0x0652052A
.long 0xD3CD8098, 0x0662092A
.long 0xBF8C4F71
.long 0x7E18716E
.long 0xD3CD809C, 0x06720D2A
.long 0xE0541000, 0x3E0C6E6A
.long 0xD3CD80A0, 0x0682012C
.long 0xD3CD80A4, 0x0692052C
.long 0xD3CD80A8, 0x06A2092C
.long 0xD3CD80AC, 0x06B20D2C
.long 0xD3CD80B0, 0x06C2012E
.long 0xBF8C4F71
.long 0x7E207170
.long 0xD3CD80B4, 0x06D2052E
.long 0xE0541000, 0x3F0C706A
.long 0xD3CD80B8, 0x06E2092E
.long 0xD3CD80BC, 0x06F20D2E
.long 0xD3CD80C0, 0x07020130
.long 0xD3CD80C4, 0x07120530
.long 0xBF8C4F71
.long 0x7E287172
.long 0xD3CD80C8, 0x07220930
.long 0xE0541000, 0x400C726A
.long 0xD3CD80CC, 0x07320D30
.long 0xD3CD80D0, 0x07420132
.long 0xD3CD80D4, 0x07520532
.long 0xD3CD80D8, 0x07620932
	;; [unrolled: 17-line block ×4, first 2 shown]
.long 0xD3CD00F4, 0x07D2053E
.long 0xBF8C4F71
.long 0xD89A0000, 0x00007C69
.long 0xD3CD00F8, 0x07E2093E
.long 0xE0541000, 0x800D7C6B
.long 0xD3CD00FC, 0x07F20D3E
.long 0xD3CD8000, 0x04032940
.long 0xD3CD8004, 0x04132D40
.long 0xD3CD8008, 0x04233140
.long 0xD3CD800C, 0x04333540
.long 0xBF8C4F71
.long 0xD89A0220, 0x00007E69
.long 0xD3CD8010, 0x04432942
.long 0xE0541000, 0x450D7E6B
.long 0xD3CD8014, 0x04532D42
.long 0xD3CD8018, 0x04633142
.long 0xD3CD801C, 0x04733542
.long 0xD3CD8020, 0x04832944
.long 0xBF8C4F71
.long 0xD89A0440, 0x00008069
.long 0xD3CD8024, 0x04932D44
.long 0xE0541000, 0x460D806B
.long 0xD3CD8028, 0x04A33144
.long 0xD3CD802C, 0x04B33544
.long 0xD3CD8030, 0x04C32946
.long 0xD3CD8034, 0x04D32D46
.long 0xD3CD8038, 0x04E33146
.long 0xBF8C4F71
.long 0xD89A0660, 0x00008269
.long 0xD3CD803C, 0x04F33546
.long 0xE0541000, 0x470D826B
.long 0xD3CD8040, 0x05032948
.long 0xD3CD8044, 0x05132D48
.long 0xD3CD8048, 0x05233148
	;; [unrolled: 17-line block ×4, first 2 shown]
.long 0xD3CD80A4, 0x06932D54
.long 0xBF8C4F71
.long 0xD89A1100, 0x00008C69
.long 0xD3CD80A8, 0x06A33154
	;; [unrolled: 1-line block ×8, first 2 shown]
.long 0xBF8C4F71
.long 0xD89A1320, 0x00008E69
.long 0xD3CD80C0, 0x07032958
	;; [unrolled: 1-line block ×5, first 2 shown]
.long 0xBF8CC07F
.long 0xBF8A0000
.long 0xD3CD80CC, 0x07333558
.long 0xD3CD80D0, 0x0743295A
	;; [unrolled: 1-line block ×57, first 2 shown]
.long 0x808B810B
.long 0xBF00820B
	;; [unrolled: 1-line block ×4, first 2 shown]
.long 0xD3CD8000, 0x04020118
.long 0x80300F30
.long 0xD3CD8004, 0x04120518
.long 0x82318031
	;; [unrolled: 2-line block ×4, first 2 shown]
.long 0xD3CD8010, 0x0442011A
.long 0xD8EC0020, 0x40000091
.long 0xBF068039
.long 0xD3CD8014, 0x0452051A
.long 0xD8EC0460, 0x42000091
.long 0xBEB20238
	;; [unrolled: 3-line block ×8, first 2 shown]
.long 0xD3CD8030, 0x04C2011E
.long 0xD8EC2220, 0x50000091
	;; [unrolled: 1-line block ×41, first 2 shown]
.long 0xBF8CC07F
.long 0xBF8A0000
.long 0xD3CD8084, 0x06120528
.long 0xBF8C4F71
.long 0x7E10716C
.long 0xD3CD8088, 0x06220928
.long 0xD3CD808C, 0x06320D28
.long 0xD3CD8090, 0x0642012A
.long 0xD3CD8094, 0x0652052A
.long 0xD3CD8098, 0x0662092A
.long 0xBF8C4F70
.long 0x7E18716E
.long 0xD3CD809C, 0x06720D2A
.long 0xD3CD80A0, 0x0682012C
.long 0xD3CD80A4, 0x0692052C
.long 0xD3CD80A8, 0x06A2092C
.long 0xD3CD80AC, 0x06B20D2C
.long 0xD3CD80B0, 0x06C2012E
.long 0xBF8C0F7F
.long 0x7E207170
.long 0xD3CD80B4, 0x06D2052E
.long 0xD3CD80B8, 0x06E2092E
.long 0xD3CD80BC, 0x06F20D2E
.long 0xD3CD80C0, 0x07020130
.long 0xD3CD80C4, 0x07120530
.long 0xBF8C0F7E
.long 0x7E287172
.long 0xD3CD80C8, 0x07220930
.long 0xD3CD80CC, 0x07320D30
.long 0xD3CD80D0, 0x07420132
.long 0xD3CD80D4, 0x07520532
.long 0xD3CD80D8, 0x07620932
	;; [unrolled: 15-line block ×4, first 2 shown]
.long 0xD3CD00F4, 0x07D2053E
.long 0xBF8C0F79
.long 0xD89A0000, 0x00007C69
.long 0xD3CD00F8, 0x07E2093E
.long 0xD3CD00FC, 0x07F20D3E
.long 0xD3CD8000, 0x04032940
.long 0xD3CD8004, 0x04132D40
.long 0xD3CD8008, 0x04233140
.long 0xD3CD800C, 0x04333540
.long 0xBF8C0F78
.long 0xD89A0220, 0x00007E69
.long 0xD3CD8010, 0x04432942
.long 0xD3CD8014, 0x04532D42
.long 0xD3CD8018, 0x04633142
.long 0xD3CD801C, 0x04733542
.long 0xD3CD8020, 0x04832944
.long 0xBF8C0F77
.long 0xD89A0440, 0x00008069
.long 0xD3CD8024, 0x04932D44
.long 0xD3CD8028, 0x04A33144
.long 0xD3CD802C, 0x04B33544
.long 0xD3CD8030, 0x04C32946
.long 0xD3CD8034, 0x04D32D46
.long 0xD3CD8038, 0x04E33146
.long 0xBF8C0F76
.long 0xD89A0660, 0x00008269
.long 0xD3CD803C, 0x04F33546
.long 0xD3CD8040, 0x05032948
.long 0xD3CD8044, 0x05132D48
.long 0xD3CD8048, 0x05233148
	;; [unrolled: 15-line block ×4, first 2 shown]
.long 0xD3CD80A4, 0x06932D54
.long 0xBF8C0F71
.long 0xD89A1100, 0x00008C69
.long 0xD3CD80A8, 0x06A33154
	;; [unrolled: 1-line block ×7, first 2 shown]
.long 0xBF8C0F70
.long 0xD89A1320, 0x00008E69
.long 0xD3CD80C0, 0x07032958
	;; [unrolled: 1-line block ×4, first 2 shown]
.long 0xBF8CC07F
.long 0xBF8A0000
.long 0xD3CD80CC, 0x07333558
.long 0xD3CD80D0, 0x0743295A
	;; [unrolled: 1-line block ×57, first 2 shown]
.long 0xBF06812E
.long 0xBF840E59
	;; [unrolled: 1-line block ×5, first 2 shown]
.long 0x815484FF, 0x00003954
.long 0x80525452
.long 0x82538053
	;; [unrolled: 1-line block ×6, first 2 shown]
.long 0x815484FF, 0x00003934
.long 0x80525452
.long 0x82538053
	;; [unrolled: 1-line block ×3, first 2 shown]
.long 0x864E18FF, 0x000000FF
.long 0x804F0DC1
.long 0xBF094F02
	;; [unrolled: 1-line block ×6, first 2 shown]
.long 0x815484FF, 0x00003900
.long 0x80525452
.long 0x82538053
	;; [unrolled: 1-line block ×4, first 2 shown]
.long 0x925019FF, 0x00000199
.long 0x8ED09050
.long 0x924FFF19, 0x0000999A
.long 0x8050504F
.long 0x82518051
.long 0x8FD0A150
.long 0xBECF0050
.long 0x9250FF4F, 0x00000140
.long 0x80CE5019
.long 0x804F0EC1
.long 0xBF094F03
.long 0x854E804E
.long 0xB54E0000
.long 0xBF840006
.long 0xBED21C00
.long 0x815484FF, 0x000038A0
.long 0x80525452
.long 0x82538053
.long 0xBE801D52
	;; [unrolled: 8-line block ×3, first 2 shown]
.long 0xBF8CC07F
.long 0xD3CD8000, 0x04020118
.long 0xD3CD8004, 0x04120518
.long 0xD3CD8008, 0x04220918
.long 0xD3CD800C, 0x04320D18
.long 0xD3CD8010, 0x0442011A
.long 0xD8EC0020, 0x40000091
.long 0xD3CD8014, 0x0452051A
.long 0xD8EC0460, 0x42000091
.long 0xD3CD8018, 0x0462091A
.long 0xD8EC08A0, 0x44000091
.long 0xD3CD801C, 0x04720D1A
.long 0xD8EC0CE0, 0x46000091
.long 0xD3CD8020, 0x0482011C
.long 0xD8EC1120, 0x48000091
.long 0xD3CD8024, 0x0492051C
.long 0xD8EC1560, 0x4A000091
.long 0xD3CD8028, 0x04A2091C
.long 0xD8EC19A0, 0x4C000091
.long 0xD3CD802C, 0x04B20D1C
.long 0xD8EC1DE0, 0x4E000091
.long 0xD3CD8030, 0x04C2011E
.long 0xD8EC2220, 0x50000091
.long 0xD3CD8034, 0x04D2051E
.long 0xD8EC2660, 0x52000091
.long 0xD3CD8038, 0x04E2091E
.long 0xD8EC2AA0, 0x54000091
.long 0xD3CD803C, 0x04F20D1E
.long 0xD8EC2EE0, 0x56000091
.long 0xD3CD8040, 0x05020120
.long 0xD8EC3320, 0x58000091
.long 0xD3CD8044, 0x05120520
.long 0xD8EC3760, 0x5A000091
.long 0xD3CD8048, 0x05220920
.long 0xD8EC3BA0, 0x5C000091
.long 0xD3CD804C, 0x05320D20
.long 0xD8EC3FE0, 0x5E000091
.long 0xD3CD8050, 0x05420122
.long 0xD8EC4420, 0x60000091
.long 0xD3CD8054, 0x05520522
.long 0xD8EC4860, 0x62000091
.long 0xD3CD8058, 0x05620922
.long 0xD8EC4CA0, 0x64000091
.long 0xD3CD805C, 0x05720D22
.long 0xD8EC50E0, 0x66000091
.long 0xD3CD8060, 0x05820124
.long 0xD1ED0094, 0x00F2150E
.long 0xD1ED0095, 0x00F22516
.long 0xD1ED0096, 0x00F6150E
.long 0xD3CD8064, 0x05920524
.long 0xD1ED0097, 0x00F62516
.long 0xD1ED0098, 0x00F2170F
.long 0xD1ED0099, 0x00F22717
.long 0xD3CD8068, 0x05A20924
.long 0xD1ED009A, 0x00F6170F
.long 0xD1ED009B, 0x00F62717
.long 0xD3CD806C, 0x05B20D24
.long 0xD3CD8070, 0x05C20126
.long 0xD3CD8074, 0x05D20526
.long 0xD3CD8078, 0x05E20926
.long 0xD3CD807C, 0x05F20D26
.long 0xD3CD8080, 0x06020128
.long 0xD3CD8084, 0x06120528
.long 0xD3CD8088, 0x06220928
.long 0xD3CD808C, 0x06320D28
.long 0xD3CD8090, 0x0642012A
.long 0xD3CD8094, 0x0652052A
.long 0xD3CD8098, 0x0662092A
.long 0xD3CD809C, 0x06720D2A
.long 0xD3CD80A0, 0x0682012C
.long 0xD3CD80A4, 0x0692052C
.long 0xD3CD80A8, 0x06A2092C
.long 0xD3CD80AC, 0x06B20D2C
.long 0xD3CD80B0, 0x06C2012E
.long 0xD3CD80B4, 0x06D2052E
.long 0xD3CD80B8, 0x06E2092E
.long 0xD3CD80BC, 0x06F20D2E
.long 0xD3CD80C0, 0x07020130
.long 0xD3CD80C4, 0x07120530
.long 0xD3CD80C8, 0x07220930
.long 0xD3CD80CC, 0x07320D30
.long 0xD3CD80D0, 0x07420132
.long 0xD3CD80D4, 0x07520532
.long 0xD3CD80D8, 0x07620932
.long 0xD3CD80DC, 0x07720D32
.long 0xD3CD80E0, 0x07820134
.long 0xD3CD80E4, 0x07920534
.long 0xD3CD80E8, 0x07A20934
.long 0xD3CD80EC, 0x07B20D34
.long 0xD3CD80F0, 0x07C20136
.long 0xD3CD80F4, 0x07D20536
.long 0xD3CD80F8, 0x07E20936
.long 0xD3CD80FC, 0x07F20D36
.long 0xD3CD00C0, 0x07020138
.long 0xD3CD00C4, 0x07120538
.long 0xD3CD00C8, 0x07220938
.long 0xD3CD00CC, 0x07320D38
.long 0xD3CD00D0, 0x0742013A
.long 0xD3CD00D4, 0x0752053A
.long 0xD3CD00D8, 0x0762093A
.long 0xD3CD00DC, 0x07720D3A
.long 0xD3CD00E0, 0x0782013C
.long 0xD3CD00E4, 0x0792053C
.long 0xD3CD00E8, 0x07A2093C
.long 0xD3CD00EC, 0x07B20D3C
.long 0xD3CD00F0, 0x07C2013E
.long 0xD3CD00F4, 0x07D2053E
.long 0xD3CD00F8, 0x07E2093E
.long 0xD3CD00FC, 0x07F20D3E
.long 0xBF8CC07F
.long 0xD3CD8000, 0x04032940
.long 0xD3CD8004, 0x04132D40
	;; [unrolled: 1-line block ×80, first 2 shown]
.long 0xBF128006
.long 0xBF840005
.long 0xC00E0C00, 0x00000058
.long 0xC0020E00, 0x00000078
.long 0xBF820008
.long 0xC00A0C03, 0x00000090
.long 0xC0060D03, 0x000000A0
	;; [unrolled: 1-line block ×4, first 2 shown]
.long 0x20092486
.long 0x200A0882
.long 0xD2850005, 0x00020A90
.long 0x260324BF
.long 0x20020284
	;; [unrolled: 1-line block ×3, first 2 shown]
.long 0xD1FE0001, 0x02020305
.long 0xD2850002, 0x00004D01
	;; [unrolled: 1-line block ×3, first 2 shown]
.long 0x26000883
.long 0xD2850000, 0x00020090
.long 0x260B248F
.long 0xD1FE0000, 0x020A0105
.long 0x920502FF, 0x00000100
.long 0x68000005
.long 0x920503FF, 0x00000140
.long 0x68020205
.long 0xBF8CC07F
	;; [unrolled: 1-line block ×4, first 2 shown]
.long 0xBEBF00FF, 0x00020000
.long 0xBF128030
.long 0xBF840002
	;; [unrolled: 1-line block ×12, first 2 shown]
.long 0xBEC300FF, 0x00020000
.long 0xBF128032
.long 0xBF840002
	;; [unrolled: 1-line block ×8, first 2 shown]
.long 0x920502FF, 0x00000100
.long 0x68112405
.long 0x92050435
	;; [unrolled: 1-line block ×4, first 2 shown]
.long 0xE0501000, 0x80100408
.long 0x24112482
.long 0xBF8C0F70
.long 0xBF8A0000
.long 0xD81A0000, 0x00000408
.long 0xBF820012
.long 0xB4B40004
.long 0xBF850010
.long 0x92424282
.long 0x920502FF, 0x00000100
.long 0x68112405
	;; [unrolled: 5-line block ×4, first 2 shown]
.long 0xB4380001
.long 0xBF850014
	;; [unrolled: 1-line block ×17, first 2 shown]
.long 0x810584FF, 0x00019DF0
.long 0x803A053A
.long 0x823B803B
.long 0xBF820030
.long 0xBEBA1C00
.long 0x810584FF, 0x00019DDC
.long 0x803A053A
.long 0x823B803B
.long 0xBF82002A
.long 0xBEBA1C00
.long 0x810584FF, 0x00019DE8
.long 0x803A053A
.long 0x823B803B
.long 0xBF820024
.long 0xBEBA1C00
.long 0x810584FF, 0x00019E14
.long 0x803A053A
.long 0x823B803B
.long 0xBF82001E
.long 0xBEBA1C00
.long 0x810584FF, 0x00019F00
.long 0x803A053A
.long 0x823B803B
.long 0xBF820018
.long 0xBEBA1C00
.long 0x810584FF, 0x00019F2C
.long 0x803A053A
.long 0x823B803B
.long 0xBF820012
.long 0xBEBA1C00
.long 0x810584FF, 0x00019F38
.long 0x803A053A
.long 0x823B803B
.long 0xBF82000C
.long 0xBEBA1C00
.long 0x810584FF, 0x00019F94
.long 0x803A053A
.long 0x823B803B
.long 0xBF820006
.long 0xBEBA1C00
.long 0x810584FF, 0x0001A030
.long 0x803A053A
.long 0x823B803B
	;; [unrolled: 1-line block ×3, first 2 shown]
.long 0x924602FF, 0x00000100
.long 0xD135000B, 0x00008D00
.long 0x24161682
.long 0xBF8CC07F
	;; [unrolled: 1-line block ×3, first 2 shown]
.long 0xD9FE0000, 0x1000000B
.long 0x24180082
.long 0xE05C1000, 0x800F140C
.long 0xD1FE0009, 0x020A0103
.long 0xD3D84018, 0x18000100
.long 0xD3D84019, 0x18000104
.long 0xD3D8401A, 0x18000108
.long 0xD3D8401B, 0x1800010C
.long 0xD3D8401C, 0x18000101
.long 0xD3D8401D, 0x18000105
.long 0xD3D8401E, 0x18000109
.long 0xD3D8401F, 0x1800010D
.long 0xD3D84020, 0x18000102
.long 0xD3D84021, 0x18000106
.long 0xD3D84022, 0x1800010A
.long 0xD3D84023, 0x1800010E
.long 0xD3D84024, 0x18000103
.long 0xD3D84025, 0x18000107
.long 0xD3D84026, 0x1800010B
.long 0xD3D84027, 0x1800010F
.long 0xD3D84028, 0x18000110
.long 0xD3D84029, 0x18000114
.long 0xD3D8402A, 0x18000118
.long 0xD3D8402B, 0x1800011C
.long 0xD3D8402C, 0x18000111
.long 0xD3D8402D, 0x18000115
.long 0xD3D8402E, 0x18000119
.long 0xD3D8402F, 0x1800011D
.long 0xD3D84030, 0x18000112
.long 0xD3D84031, 0x18000116
.long 0xD3D84032, 0x1800011A
.long 0xD3D84033, 0x1800011E
.long 0xD3D84034, 0x18000113
.long 0xD3D84035, 0x18000117
.long 0xD3D84036, 0x1800011B
.long 0xD3D84037, 0x1800011F
.long 0xD3D84038, 0x18000120
.long 0xD3D84039, 0x18000124
.long 0xD3D8403A, 0x18000128
.long 0xD3D8403B, 0x1800012C
.long 0xD3D8403C, 0x18000121
.long 0xD3D8403D, 0x18000125
.long 0xD3D8403E, 0x18000129
.long 0xD3D8403F, 0x1800012D
.long 0xD3D84040, 0x18000122
.long 0xD3D84041, 0x18000126
.long 0xD3D84042, 0x1800012A
.long 0xD3D84043, 0x1800012E
.long 0xD3D84044, 0x18000123
.long 0xD3D84045, 0x18000127
.long 0xD3D84046, 0x1800012B
.long 0xD3D84047, 0x1800012F
.long 0xBF800001
.long 0xBF8C0000
.long 0xD0CC0030, 0x0001003E
.long 0xD1000014, 0x00C228F2
	;; [unrolled: 1-line block ×10, first 2 shown]
.long 0xBEC41E3A
.long 0x7E300304
.long 0x7E320305
.long 0x7E340306
.long 0x7E360307
.long 0xE07C1000, 0x80041809
.long 0xD0CC0030, 0x0001003E
.long 0xD1000014, 0x00C228F2
.long 0xD1000015, 0x00C22AF2
.long 0xD3B1401C, 0x18023914
.long 0xD0CC0030, 0x0001003E
.long 0xD1000016, 0x00C22CF2
.long 0xD1000017, 0x00C22EF2
.long 0xD3B1401E, 0x18023D16
.long 0xD3B24004, 0x18023910
.long 0xD3B24006, 0x18023D12
.long 0xBEC41E3A
.long 0x7E380304
.long 0x7E3A0305
.long 0x7E3C0306
.long 0x7E3E0307
.long 0x8E468224
.long 0x80104610
.long 0x82118011
.long 0xE07C1000, 0x80041C09
.long 0xD0CC0030, 0x0001003E
.long 0xD1000014, 0x00C228F2
.long 0xD1000015, 0x00C22AF2
.long 0xD3B14020, 0x18024114
.long 0xD0CC0030, 0x0001003E
.long 0xD1000016, 0x00C22CF2
.long 0xD1000017, 0x00C22EF2
.long 0xD3B14022, 0x18024516
.long 0xD3B24004, 0x18024110
.long 0xD3B24006, 0x18024512
.long 0xBEC41E3A
.long 0x7E400304
.long 0x7E420305
	;; [unrolled: 19-line block ×11, first 2 shown]
.long 0x7E8C0306
.long 0x7E8E0307
.long 0x8E468224
.long 0x80104610
.long 0x82118011
.long 0xE07C1000, 0x80044409
.long 0xBF800000
.long 0x924602FF, 0x00000100
.long 0xD135000B, 0x00008D00
.long 0x24161682
.long 0xD9FE0000, 0x1000000B
.long 0xE05C1000, 0x800F140C
	;; [unrolled: 1-line block ×50, first 2 shown]
.long 0xBF800001
.long 0xBF8C0000
.long 0xD0CC0030, 0x0001003E
.long 0xD1000014, 0x00C228F2
.long 0xD1000015, 0x00C22AF2
.long 0xD3B14018, 0x18023114
.long 0xD0CC0030, 0x0001003E
.long 0xD1000016, 0x00C22CF2
.long 0xD1000017, 0x00C22EF2
.long 0xD3B1401A, 0x18023516
.long 0xD3B24004, 0x18023110
.long 0xD3B24006, 0x18023512
.long 0xBEC41E3A
.long 0x7E300304
.long 0x7E320305
.long 0x7E340306
.long 0x7E360307
.long 0x9246B424
.long 0x80104610
.long 0x82118011
.long 0xE07C1000, 0x80041809
.long 0xD0CC0030, 0x0001003E
.long 0xD1000014, 0x00C228F2
.long 0xD1000015, 0x00C22AF2
.long 0xD3B1401C, 0x18023914
.long 0xD0CC0030, 0x0001003E
.long 0xD1000016, 0x00C22CF2
.long 0xD1000017, 0x00C22EF2
.long 0xD3B1401E, 0x18023D16
.long 0xD3B24004, 0x18023910
.long 0xD3B24006, 0x18023D12
.long 0xBEC41E3A
.long 0x7E380304
.long 0x7E3A0305
.long 0x7E3C0306
.long 0x7E3E0307
.long 0x8E468224
.long 0x80104610
.long 0x82118011
.long 0xE07C1000, 0x80041C09
	;; [unrolled: 19-line block ×12, first 2 shown]
.long 0xBF800000
.long 0x924602FF, 0x00000100
.long 0xD135000B, 0x00008D00
.long 0x24161682
.long 0xD9FE0000, 0x1000000B
.long 0xE05C1000, 0x800F140C
	;; [unrolled: 1-line block ×50, first 2 shown]
.long 0xBF800001
.long 0xBF8C0000
.long 0xD0CC0030, 0x0001003E
.long 0xD1000014, 0x00C228F2
.long 0xD1000015, 0x00C22AF2
.long 0xD3B14018, 0x18023114
.long 0xD0CC0030, 0x0001003E
.long 0xD1000016, 0x00C22CF2
.long 0xD1000017, 0x00C22EF2
.long 0xD3B1401A, 0x18023516
.long 0xD3B24004, 0x18023110
.long 0xD3B24006, 0x18023512
.long 0xBEC41E3A
.long 0x7E300304
.long 0x7E320305
.long 0x7E340306
.long 0x7E360307
.long 0x9246B424
.long 0x80104610
.long 0x82118011
.long 0xE07C1000, 0x80041809
.long 0xD0CC0030, 0x0001003E
.long 0xD1000014, 0x00C228F2
.long 0xD1000015, 0x00C22AF2
.long 0xD3B1401C, 0x18023914
.long 0xD0CC0030, 0x0001003E
.long 0xD1000016, 0x00C22CF2
.long 0xD1000017, 0x00C22EF2
.long 0xD3B1401E, 0x18023D16
.long 0xD3B24004, 0x18023910
.long 0xD3B24006, 0x18023D12
.long 0xBEC41E3A
.long 0x7E380304
.long 0x7E3A0305
.long 0x7E3C0306
.long 0x7E3E0307
.long 0x8E468224
.long 0x80104610
.long 0x82118011
.long 0xE07C1000, 0x80041C09
	;; [unrolled: 19-line block ×12, first 2 shown]
.long 0xBF800000
.long 0x924602FF, 0x00000100
.long 0xD135000B, 0x00008D00
.long 0x24161682
.long 0xD9FE0000, 0x1000000B
.long 0xE05C1000, 0x800F140C
	;; [unrolled: 1-line block ×50, first 2 shown]
.long 0xBF800001
.long 0xBF8C0000
.long 0xD0CC0030, 0x0001003E
.long 0xD1000014, 0x00C228F2
.long 0xD1000015, 0x00C22AF2
.long 0xD3B14018, 0x18023114
.long 0xD0CC0030, 0x0001003E
.long 0xD1000016, 0x00C22CF2
.long 0xD1000017, 0x00C22EF2
.long 0xD3B1401A, 0x18023516
.long 0xD3B24004, 0x18023110
.long 0xD3B24006, 0x18023512
.long 0xBEC41E3A
.long 0x7E300304
.long 0x7E320305
.long 0x7E340306
.long 0x7E360307
.long 0x9246B424
.long 0x80104610
.long 0x82118011
.long 0xE07C1000, 0x80041809
.long 0xD0CC0030, 0x0001003E
.long 0xD1000014, 0x00C228F2
.long 0xD1000015, 0x00C22AF2
.long 0xD3B1401C, 0x18023914
.long 0xD0CC0030, 0x0001003E
.long 0xD1000016, 0x00C22CF2
.long 0xD1000017, 0x00C22EF2
.long 0xD3B1401E, 0x18023D16
.long 0xD3B24004, 0x18023910
.long 0xD3B24006, 0x18023D12
.long 0xBEC41E3A
.long 0x7E380304
.long 0x7E3A0305
.long 0x7E3C0306
.long 0x7E3E0307
.long 0x8E468224
.long 0x80104610
.long 0x82118011
.long 0xE07C1000, 0x80041C09
.long 0xD0CC0030, 0x0001003E
.long 0xD1000014, 0x00C228F2
.long 0xD1000015, 0x00C22AF2
.long 0xD3B14020, 0x18024114
.long 0xD0CC0030, 0x0001003E
.long 0xD1000016, 0x00C22CF2
.long 0xD1000017, 0x00C22EF2
.long 0xD3B14022, 0x18024516
.long 0xD3B24004, 0x18024110
.long 0xD3B24006, 0x18024512
.long 0xBEC41E3A
.long 0x7E400304
.long 0x7E420305
.long 0x7E440306
.long 0x7E460307
.long 0x8E468224
.long 0x80104610
.long 0x82118011
.long 0xE07C1000, 0x80042009
.long 0xD0CC0030, 0x0001003E
.long 0xD1000014, 0x00C228F2
.long 0xD1000015, 0x00C22AF2
.long 0xD3B14024, 0x18024914
.long 0xD0CC0030, 0x0001003E
.long 0xD1000016, 0x00C22CF2
.long 0xD1000017, 0x00C22EF2
.long 0xD3B14026, 0x18024D16
.long 0xD3B24004, 0x18024910
.long 0xD3B24006, 0x18024D12
.long 0xBEC41E3A
.long 0x7E480304
.long 0x7E4A0305
.long 0x7E4C0306
.long 0x7E4E0307
.long 0x8E468224
.long 0x80104610
.long 0x82118011
.long 0xE07C1000, 0x80042409
.long 0xD0CC0030, 0x0001003E
.long 0xD1000014, 0x00C228F2
.long 0xD1000015, 0x00C22AF2
.long 0xD3B14028, 0x18025114
.long 0xD0CC0030, 0x0001003E
.long 0xD1000016, 0x00C22CF2
.long 0xD1000017, 0x00C22EF2
.long 0xD3B1402A, 0x18025516
.long 0xD3B24004, 0x18025110
.long 0xD3B24006, 0x18025512
.long 0xBEC41E3A
.long 0x7E500304
.long 0x7E520305
.long 0x7E540306
.long 0x7E560307
.long 0x9246B424
.long 0x80104610
.long 0x82118011
.long 0xE07C1000, 0x80042809
.long 0xD0CC0030, 0x0001003E
.long 0xD1000014, 0x00C228F2
.long 0xD1000015, 0x00C22AF2
.long 0xD3B1402C, 0x18025914
.long 0xD0CC0030, 0x0001003E
.long 0xD1000016, 0x00C22CF2
.long 0xD1000017, 0x00C22EF2
.long 0xD3B1402E, 0x18025D16
.long 0xD3B24004, 0x18025910
.long 0xD3B24006, 0x18025D12
.long 0xBEC41E3A
.long 0x7E580304
.long 0x7E5A0305
.long 0x7E5C0306
.long 0x7E5E0307
.long 0x8E468224
.long 0x80104610
.long 0x82118011
.long 0xE07C1000, 0x80042C09
.long 0xD0CC0030, 0x0001003E
.long 0xD1000014, 0x00C228F2
.long 0xD1000015, 0x00C22AF2
.long 0xD3B14030, 0x18026114
.long 0xD0CC0030, 0x0001003E
.long 0xD1000016, 0x00C22CF2
.long 0xD1000017, 0x00C22EF2
.long 0xD3B14032, 0x18026516
.long 0xD3B24004, 0x18026110
.long 0xD3B24006, 0x18026512
.long 0xBEC41E3A
.long 0x7E600304
.long 0x7E620305
.long 0x7E640306
.long 0x7E660307
.long 0x8E468224
.long 0x80104610
.long 0x82118011
.long 0xE07C1000, 0x80043009
.long 0xD0CC0030, 0x0001003E
.long 0xD1000014, 0x00C228F2
.long 0xD1000015, 0x00C22AF2
.long 0xD3B14034, 0x18026914
.long 0xD0CC0030, 0x0001003E
.long 0xD1000016, 0x00C22CF2
.long 0xD1000017, 0x00C22EF2
.long 0xD3B14036, 0x18026D16
.long 0xD3B24004, 0x18026910
.long 0xD3B24006, 0x18026D12
.long 0xBEC41E3A
.long 0x7E680304
.long 0x7E6A0305
.long 0x7E6C0306
.long 0x7E6E0307
.long 0x8E468224
.long 0x80104610
.long 0x82118011
.long 0xE07C1000, 0x80043409
.long 0xD0CC0030, 0x0001003E
.long 0xD1000014, 0x00C228F2
.long 0xD1000015, 0x00C22AF2
.long 0xD3B14038, 0x18027114
.long 0xD0CC0030, 0x0001003E
.long 0xD1000016, 0x00C22CF2
.long 0xD1000017, 0x00C22EF2
.long 0xD3B1403A, 0x18027516
.long 0xD3B24004, 0x18027110
.long 0xD3B24006, 0x18027512
.long 0xBEC41E3A
.long 0x7E700304
.long 0x7E720305
.long 0x7E740306
.long 0x7E760307
.long 0x9246B424
.long 0x80104610
.long 0x82118011
.long 0xE07C1000, 0x80043809
.long 0xD0CC0030, 0x0001003E
.long 0xD1000014, 0x00C228F2
.long 0xD1000015, 0x00C22AF2
.long 0xD3B1403C, 0x18027914
.long 0xD0CC0030, 0x0001003E
.long 0xD1000016, 0x00C22CF2
.long 0xD1000017, 0x00C22EF2
.long 0xD3B1403E, 0x18027D16
.long 0xD3B24004, 0x18027910
.long 0xD3B24006, 0x18027D12
.long 0xBEC41E3A
.long 0x7E780304
.long 0x7E7A0305
.long 0x7E7C0306
.long 0x7E7E0307
.long 0x8E468224
.long 0x80104610
.long 0x82118011
.long 0xE07C1000, 0x80043C09
.long 0xD0CC0030, 0x0001003E
.long 0xD1000014, 0x00C228F2
.long 0xD1000015, 0x00C22AF2
.long 0xD3B14040, 0x18028114
.long 0xD0CC0030, 0x0001003E
.long 0xD1000016, 0x00C22CF2
.long 0xD1000017, 0x00C22EF2
.long 0xD3B14042, 0x18028516
.long 0xD3B24004, 0x18028110
.long 0xD3B24006, 0x18028512
.long 0xBEC41E3A
.long 0x7E800304
.long 0x7E820305
.long 0x7E840306
.long 0x7E860307
.long 0x8E468224
.long 0x80104610
.long 0x82118011
.long 0xE07C1000, 0x80044009
.long 0xD0CC0030, 0x0001003E
.long 0xD1000014, 0x00C228F2
.long 0xD1000015, 0x00C22AF2
.long 0xD3B14044, 0x18028914
.long 0xD0CC0030, 0x0001003E
.long 0xD1000016, 0x00C22CF2
.long 0xD1000017, 0x00C22EF2
.long 0xD3B14046, 0x18028D16
.long 0xD3B24004, 0x18028910
.long 0xD3B24006, 0x18028D12
.long 0xBEC41E3A
.long 0x7E880304
.long 0x7E8A0305
.long 0x7E8C0306
.long 0x7E8E0307
.long 0x8E468224
.long 0x80104610
.long 0x82118011
.long 0xE07C1000, 0x80044409
.long 0xBF800000
.long 0x924602FF, 0x00000100
.long 0xD135000B, 0x00008D00
.long 0x24161682
.long 0xD9FE0000, 0x1000000B
.long 0xE05C1000, 0x800F140C
.long 0xD3D84018, 0x180001C0
.long 0xD3D84019, 0x180001C4
.long 0xD3D8401A, 0x180001C8
.long 0xD3D8401B, 0x180001CC
.long 0xD3D8401C, 0x180001C1
.long 0xD3D8401D, 0x180001C5
.long 0xD3D8401E, 0x180001C9
.long 0xD3D8401F, 0x180001CD
.long 0xD3D84020, 0x180001C2
.long 0xD3D84021, 0x180001C6
.long 0xD3D84022, 0x180001CA
.long 0xD3D84023, 0x180001CE
.long 0xD3D84024, 0x180001C3
.long 0xD3D84025, 0x180001C7
.long 0xD3D84026, 0x180001CB
.long 0xD3D84027, 0x180001CF
.long 0xD3D84028, 0x180001D0
.long 0xD3D84029, 0x180001D4
.long 0xD3D8402A, 0x180001D8
.long 0xD3D8402B, 0x180001DC
.long 0xD3D8402C, 0x180001D1
.long 0xD3D8402D, 0x180001D5
.long 0xD3D8402E, 0x180001D9
.long 0xD3D8402F, 0x180001DD
.long 0xD3D84030, 0x180001D2
.long 0xD3D84031, 0x180001D6
.long 0xD3D84032, 0x180001DA
.long 0xD3D84033, 0x180001DE
.long 0xD3D84034, 0x180001D3
.long 0xD3D84035, 0x180001D7
.long 0xD3D84036, 0x180001DB
.long 0xD3D84037, 0x180001DF
.long 0xD3D84038, 0x180001E0
.long 0xD3D84039, 0x180001E4
.long 0xD3D8403A, 0x180001E8
.long 0xD3D8403B, 0x180001EC
.long 0xD3D8403C, 0x180001E1
.long 0xD3D8403D, 0x180001E5
.long 0xD3D8403E, 0x180001E9
.long 0xD3D8403F, 0x180001ED
.long 0xD3D84040, 0x180001E2
.long 0xD3D84041, 0x180001E6
.long 0xD3D84042, 0x180001EA
.long 0xD3D84043, 0x180001EE
.long 0xD3D84044, 0x180001E3
.long 0xD3D84045, 0x180001E7
.long 0xD3D84046, 0x180001EB
.long 0xD3D84047, 0x180001EF
.long 0xBF800001
.long 0xBF8C0000
.long 0xD0CC0030, 0x0001003E
.long 0xD1000014, 0x00C228F2
.long 0xD1000015, 0x00C22AF2
.long 0xD3B14018, 0x18023114
.long 0xD0CC0030, 0x0001003E
.long 0xD1000016, 0x00C22CF2
.long 0xD1000017, 0x00C22EF2
.long 0xD3B1401A, 0x18023516
.long 0xD3B24004, 0x18023110
.long 0xD3B24006, 0x18023512
.long 0xBEC41E3A
.long 0x7E300304
.long 0x7E320305
.long 0x7E340306
.long 0x7E360307
.long 0x9246B424
.long 0x80104610
.long 0x82118011
.long 0xE07C1000, 0x80041809
.long 0xD0CC0030, 0x0001003E
.long 0xD1000014, 0x00C228F2
.long 0xD1000015, 0x00C22AF2
.long 0xD3B1401C, 0x18023914
.long 0xD0CC0030, 0x0001003E
.long 0xD1000016, 0x00C22CF2
.long 0xD1000017, 0x00C22EF2
.long 0xD3B1401E, 0x18023D16
.long 0xD3B24004, 0x18023910
.long 0xD3B24006, 0x18023D12
.long 0xBEC41E3A
.long 0x7E380304
.long 0x7E3A0305
.long 0x7E3C0306
.long 0x7E3E0307
.long 0x8E468224
.long 0x80104610
.long 0x82118011
.long 0xE07C1000, 0x80041C09
	;; [unrolled: 19-line block ×12, first 2 shown]
.long 0xBF800000
.long 0x924602FF, 0x00000100
.long 0xD135000B, 0x00008D00
.long 0x24161682
.long 0xD9FE0000, 0x1000000B
.long 0xE05C1000, 0x800F140C
	;; [unrolled: 1-line block ×18, first 2 shown]
.long 0x7E5003C0
.long 0x7E5203C4
	;; [unrolled: 1-line block ×34, first 2 shown]
.long 0xD0CC0030, 0x0001003E
.long 0xD1000014, 0x00C228F2
.long 0xD1000015, 0x00C22AF2
.long 0xD3B14018, 0x18023114
.long 0xD0CC0030, 0x0001003E
.long 0xD1000016, 0x00C22CF2
.long 0xD1000017, 0x00C22EF2
.long 0xD3B1401A, 0x18023516
.long 0xD3B24004, 0x18023110
.long 0xD3B24006, 0x18023512
.long 0xBEC41E3A
.long 0x7E300304
.long 0x7E320305
.long 0x7E340306
.long 0x7E360307
.long 0x9246B424
.long 0x80104610
.long 0x82118011
.long 0xE07C1000, 0x80041809
.long 0xD0CC0030, 0x0001003E
.long 0xD1000014, 0x00C228F2
.long 0xD1000015, 0x00C22AF2
.long 0xD3B1401C, 0x18023914
.long 0xD0CC0030, 0x0001003E
.long 0xD1000016, 0x00C22CF2
.long 0xD1000017, 0x00C22EF2
.long 0xD3B1401E, 0x18023D16
.long 0xD3B24004, 0x18023910
.long 0xD3B24006, 0x18023D12
.long 0xBEC41E3A
.long 0x7E380304
.long 0x7E3A0305
.long 0x7E3C0306
.long 0x7E3E0307
.long 0x8E468224
.long 0x80104610
.long 0x82118011
.long 0xE07C1000, 0x80041C09
	;; [unrolled: 19-line block ×12, first 2 shown]
.long 0xBF800000
.long 0x924602FF, 0x00000100
.long 0xD135000B, 0x00008D00
.long 0x24161682
.long 0xD9FE0000, 0x1000000B
.long 0xE05C1000, 0x800F140C
.long 0x7E3003E0
.long 0x7E3203E4
	;; [unrolled: 1-line block ×34, first 2 shown]
.long 0xD0CC0030, 0x0001003E
.long 0xD1000014, 0x00C228F2
.long 0xD1000015, 0x00C22AF2
.long 0xD3B14018, 0x18023114
.long 0xD0CC0030, 0x0001003E
.long 0xD1000016, 0x00C22CF2
.long 0xD1000017, 0x00C22EF2
.long 0xD3B1401A, 0x18023516
.long 0xD3B24004, 0x18023110
.long 0xD3B24006, 0x18023512
.long 0xBEC41E3A
.long 0x7E300304
.long 0x7E320305
.long 0x7E340306
.long 0x7E360307
.long 0x9246B424
.long 0x80104610
.long 0x82118011
.long 0xE07C1000, 0x80041809
.long 0xD0CC0030, 0x0001003E
.long 0xD1000014, 0x00C228F2
.long 0xD1000015, 0x00C22AF2
.long 0xD3B1401C, 0x18023914
.long 0xD0CC0030, 0x0001003E
.long 0xD1000016, 0x00C22CF2
.long 0xD1000017, 0x00C22EF2
.long 0xD3B1401E, 0x18023D16
.long 0xD3B24004, 0x18023910
.long 0xD3B24006, 0x18023D12
.long 0xBEC41E3A
.long 0x7E380304
.long 0x7E3A0305
.long 0x7E3C0306
.long 0x7E3E0307
.long 0x8E468224
.long 0x80104610
.long 0x82118011
.long 0xE07C1000, 0x80041C09
	;; [unrolled: 19-line block ×8, first 2 shown]
.long 0xBF800000
.long 0xBF820000
	;; [unrolled: 1-line block ×4, first 2 shown]
.long 0xD3CD8000, 0x04020118
.long 0xD3CD8004, 0x04120518
	;; [unrolled: 1-line block ×108, first 2 shown]
.long 0xBF8CC07F
.long 0xD3CD8000, 0x04032940
.long 0xD3CD8004, 0x04132D40
	;; [unrolled: 1-line block ×80, first 2 shown]
.long 0x860B1B9F
.long 0xBF070908
	;; [unrolled: 1-line block ×6, first 2 shown]
.long 0xE0901000, 0x800C6C6A
.long 0xE0941002, 0x800C006A
.long 0xBF8C0F70
.long 0x28D8016C
.long 0xE0901004, 0x800C6D6A
.long 0xE0941006, 0x800C006A
.long 0xBF8C0F70
.long 0x28DA016D
	;; [unrolled: 4-line block ×36, first 2 shown]
.long 0xBF8C0F70
.long 0xBF8A0000
	;; [unrolled: 1-line block ×10, first 2 shown]
.long 0xD89A0000, 0x00007C69
.long 0xD89A0220, 0x00007E69
	;; [unrolled: 1-line block ×10, first 2 shown]
.long 0xBF8CC07F
.long 0xBF8A0000
.long 0xD8EC0000, 0x18000091
.long 0xD8EC0440, 0x1A000091
	;; [unrolled: 1-line block ×20, first 2 shown]
.long 0xBE8500A0
.long 0x33232205
	;; [unrolled: 1-line block ×3, first 2 shown]
.long 0xD1ED0000, 0x00F2110C
.long 0xD1ED0001, 0x00F22114
	;; [unrolled: 1-line block ×8, first 2 shown]
.long 0x7E10710A
.long 0x7E18710E
	;; [unrolled: 1-line block ×7, first 2 shown]
.long 0xD0C6004E, 0x00001768
.long 0xD1000000, 0x01390100
	;; [unrolled: 1-line block ×49, first 2 shown]
.long 0x6AD0D00B
.long 0xD0C1004E, 0x00010968
.long 0x8650830B
.long 0x80D05084
	;; [unrolled: 1-line block ×3, first 2 shown]
.long 0xD28F006A, 0x00020050
.long 0xD1000000, 0x013AD500
	;; [unrolled: 1-line block ×72, first 2 shown]
.long 0xBF800001
.long 0xD3CD8000, 0x04020118
.long 0xD3CD8004, 0x04120518
	;; [unrolled: 1-line block ×80, first 2 shown]
.long 0x818B900B
.long 0x800C900C
	;; [unrolled: 1-line block ×8, first 2 shown]
.long 0xC00E0C00, 0x00000058
.long 0xC0020E00, 0x00000078
.long 0xBF820008
.long 0xC00A0C03, 0x00000090
.long 0xC0060D03, 0x000000A0
	;; [unrolled: 1-line block ×4, first 2 shown]
.long 0x20092486
.long 0x200A0882
.long 0xD2850005, 0x00020A90
.long 0x260324BF
.long 0x20020284
	;; [unrolled: 1-line block ×3, first 2 shown]
.long 0xD1FE0001, 0x02020305
.long 0xD2850002, 0x00004D01
	;; [unrolled: 1-line block ×3, first 2 shown]
.long 0x26000883
.long 0xD2850000, 0x00020090
.long 0x260B248F
.long 0xD1FE0000, 0x020A0105
.long 0x920502FF, 0x00000100
.long 0x68000005
.long 0x920503FF, 0x00000140
.long 0x68020205
.long 0xBF8CC07F
	;; [unrolled: 1-line block ×4, first 2 shown]
.long 0x864418FF, 0x000000FF
.long 0x80450DC1
.long 0xBF094502
	;; [unrolled: 1-line block ×6, first 2 shown]
.long 0x924619FF, 0x00000199
.long 0x8EC69046
.long 0x9245FF19, 0x0000999A
.long 0x80464645
.long 0x82478047
	;; [unrolled: 1-line block ×4, first 2 shown]
.long 0x9246FF45, 0x00000140
.long 0x80C44619
.long 0x80450EC1
	;; [unrolled: 1-line block ×6, first 2 shown]
.long 0xD1FE0006, 0x020A0103
.long 0xD3D84008, 0x18000100
	;; [unrolled: 1-line block ×65, first 2 shown]
.long 0xBF800001
.long 0xE07C1000, 0x80040806
.long 0x8E3A8224
.long 0x80103A10
.long 0x82118011
.long 0xE07C1000, 0x80040C06
.long 0x8E3A8224
.long 0x80103A10
	;; [unrolled: 4-line block ×15, first 2 shown]
.long 0x82118011
.long 0xE07C1000, 0x80044406
.long 0xBF800000
.long 0xD3D84008, 0x18000140
.long 0xD3D84009, 0x18000144
	;; [unrolled: 1-line block ×64, first 2 shown]
.long 0xBF800001
.long 0x923AB424
.long 0x80103A10
.long 0x82118011
.long 0xE07C1000, 0x80040806
.long 0x8E3A8224
.long 0x80103A10
.long 0x82118011
.long 0xE07C1000, 0x80040C06
.long 0x8E3A8224
.long 0x80103A10
.long 0x82118011
.long 0xE07C1000, 0x80041006
.long 0x8E3A8224
.long 0x80103A10
.long 0x82118011
.long 0xE07C1000, 0x80041406
.long 0x923AB424
.long 0x80103A10
.long 0x82118011
.long 0xE07C1000, 0x80041806
.long 0x8E3A8224
.long 0x80103A10
.long 0x82118011
.long 0xE07C1000, 0x80041C06
.long 0x8E3A8224
.long 0x80103A10
.long 0x82118011
.long 0xE07C1000, 0x80042006
.long 0x8E3A8224
.long 0x80103A10
.long 0x82118011
.long 0xE07C1000, 0x80042406
.long 0x923AB424
.long 0x80103A10
.long 0x82118011
.long 0xE07C1000, 0x80042806
.long 0x8E3A8224
.long 0x80103A10
.long 0x82118011
.long 0xE07C1000, 0x80042C06
.long 0x8E3A8224
.long 0x80103A10
.long 0x82118011
.long 0xE07C1000, 0x80043006
.long 0x8E3A8224
.long 0x80103A10
.long 0x82118011
.long 0xE07C1000, 0x80043406
.long 0x923AB424
.long 0x80103A10
.long 0x82118011
.long 0xE07C1000, 0x80043806
.long 0x8E3A8224
.long 0x80103A10
.long 0x82118011
.long 0xE07C1000, 0x80043C06
.long 0x8E3A8224
.long 0x80103A10
.long 0x82118011
.long 0xE07C1000, 0x80044006
.long 0x8E3A8224
.long 0x80103A10
.long 0x82118011
.long 0xE07C1000, 0x80044406
.long 0xBF800000
.long 0xD3D84008, 0x18000180
.long 0xD3D84009, 0x18000184
	;; [unrolled: 1-line block ×64, first 2 shown]
.long 0xBF800001
.long 0x923AB424
	;; [unrolled: 1-line block ×4, first 2 shown]
.long 0xE07C1000, 0x80040806
.long 0x8E3A8224
.long 0x80103A10
.long 0x82118011
.long 0xE07C1000, 0x80040C06
.long 0x8E3A8224
.long 0x80103A10
.long 0x82118011
	;; [unrolled: 4-line block ×15, first 2 shown]
.long 0xE07C1000, 0x80044406
.long 0xBF800000
.long 0xD3D84008, 0x180001C0
.long 0xD3D84009, 0x180001C4
.long 0xD3D8400A, 0x180001C8
.long 0xD3D8400B, 0x180001CC
.long 0xD3D8400C, 0x180001C1
.long 0xD3D8400D, 0x180001C5
.long 0xD3D8400E, 0x180001C9
.long 0xD3D8400F, 0x180001CD
.long 0xD3D84010, 0x180001C2
.long 0xD3D84011, 0x180001C6
.long 0xD3D84012, 0x180001CA
.long 0xD3D84013, 0x180001CE
.long 0xD3D84014, 0x180001C3
.long 0xD3D84015, 0x180001C7
.long 0xD3D84016, 0x180001CB
.long 0xD3D84017, 0x180001CF
.long 0xD3D84018, 0x180001D0
.long 0xD3D84019, 0x180001D4
.long 0xD3D8401A, 0x180001D8
.long 0xD3D8401B, 0x180001DC
.long 0xD3D8401C, 0x180001D1
.long 0xD3D8401D, 0x180001D5
.long 0xD3D8401E, 0x180001D9
.long 0xD3D8401F, 0x180001DD
.long 0xD3D84020, 0x180001D2
.long 0xD3D84021, 0x180001D6
.long 0xD3D84022, 0x180001DA
.long 0xD3D84023, 0x180001DE
.long 0xD3D84024, 0x180001D3
.long 0xD3D84025, 0x180001D7
.long 0xD3D84026, 0x180001DB
.long 0xD3D84027, 0x180001DF
.long 0xD3D84028, 0x180001E0
.long 0xD3D84029, 0x180001E4
.long 0xD3D8402A, 0x180001E8
.long 0xD3D8402B, 0x180001EC
.long 0xD3D8402C, 0x180001E1
.long 0xD3D8402D, 0x180001E5
.long 0xD3D8402E, 0x180001E9
.long 0xD3D8402F, 0x180001ED
.long 0xD3D84030, 0x180001E2
.long 0xD3D84031, 0x180001E6
.long 0xD3D84032, 0x180001EA
.long 0xD3D84033, 0x180001EE
.long 0xD3D84034, 0x180001E3
.long 0xD3D84035, 0x180001E7
.long 0xD3D84036, 0x180001EB
.long 0xD3D84037, 0x180001EF
.long 0xD3D84038, 0x180001F0
.long 0xD3D84039, 0x180001F4
.long 0xD3D8403A, 0x180001F8
.long 0xD3D8403B, 0x180001FC
.long 0xD3D8403C, 0x180001F1
.long 0xD3D8403D, 0x180001F5
.long 0xD3D8403E, 0x180001F9
.long 0xD3D8403F, 0x180001FD
.long 0xD3D84040, 0x180001F2
.long 0xD3D84041, 0x180001F6
.long 0xD3D84042, 0x180001FA
.long 0xD3D84043, 0x180001FE
.long 0xD3D84044, 0x180001F3
.long 0xD3D84045, 0x180001F7
.long 0xD3D84046, 0x180001FB
.long 0xD3D84047, 0x180001FF
.long 0xBF800001
.long 0x923AB424
	;; [unrolled: 1-line block ×4, first 2 shown]
.long 0xE07C1000, 0x80040806
.long 0x8E3A8224
.long 0x80103A10
.long 0x82118011
.long 0xE07C1000, 0x80040C06
.long 0x8E3A8224
.long 0x80103A10
.long 0x82118011
	;; [unrolled: 4-line block ×16, first 2 shown]
.long 0x7E1403C8
.long 0x7E1603CC
	;; [unrolled: 1-line block ×66, first 2 shown]
.long 0xE07C1000, 0x80040806
.long 0x8E3A8224
.long 0x80103A10
.long 0x82118011
.long 0xE07C1000, 0x80040C06
.long 0x8E3A8224
.long 0x80103A10
.long 0x82118011
	;; [unrolled: 4-line block ×15, first 2 shown]
.long 0xE07C1000, 0x80044406
.long 0xBF800000
.long 0xBF8207C5
.long 0x7E9C02FF, 0x80000000
.long 0xD0C90044, 0x00003100
.long 0xD0C90048, 0x00003301
.long 0x86C84844
.long 0xD1FE0006, 0x020A0103
.long 0xD1000006, 0x01220D4E
.long 0xD1196A01, 0x00010301
.long 0xD1340002, 0x00004D02
.long 0xD1340003, 0x00004903
.long 0xD0C90044, 0x00003100
.long 0xD0C90048, 0x00003301
.long 0x86C84844
.long 0xD1FE0007, 0x020A0103
.long 0xD1000007, 0x01220F4E
.long 0xD1196A01, 0x00010301
.long 0xD1340002, 0x00004D02
.long 0xD1340003, 0x00004903
.long 0xD0C90044, 0x00003100
.long 0xD0C90048, 0x00003301
.long 0x86C84844
.long 0xD1FE0010, 0x020A0103
.long 0xD1000010, 0x0122214E
.long 0xD1196A01, 0x00010301
.long 0xD1340002, 0x00004D02
.long 0xD1340003, 0x00004903
.long 0xD0C90044, 0x00003100
.long 0xD0C90048, 0x00003301
.long 0x86C84844
.long 0xD1FE0011, 0x020A0103
.long 0xD1000011, 0x0122234E
.long 0xD1196A01, 0x00011B01
.long 0x92448D26
.long 0xD1340002, 0x00008902
.long 0x92448D24
.long 0xD1340003, 0x00008903
.long 0xD0C90044, 0x00003100
.long 0xD0C90048, 0x00003301
.long 0x86C84844
.long 0xD1FE0012, 0x020A0103
.long 0xD1000012, 0x0122254E
.long 0xD1196A01, 0x00010301
.long 0xD1340002, 0x00004D02
.long 0xD1340003, 0x00004903
.long 0xD0C90044, 0x00003100
.long 0xD0C90048, 0x00003301
.long 0x86C84844
.long 0xD1FE0013, 0x020A0103
.long 0xD1000013, 0x0122274E
.long 0xD1196A01, 0x00010301
.long 0xD1340002, 0x00004D02
.long 0xD1340003, 0x00004903
.long 0xD0C90044, 0x00003100
.long 0xD0C90048, 0x00003301
.long 0x86C84844
.long 0xD1FE0024, 0x020A0103
.long 0xD1000024, 0x0122494E
.long 0xD1196A01, 0x00010301
.long 0xD1340002, 0x00004D02
.long 0xD1340003, 0x00004903
.long 0xD0C90044, 0x00003100
.long 0xD0C90048, 0x00003301
.long 0x86C84844
.long 0xD1FE0025, 0x020A0103
.long 0xD1000025, 0x01224B4E
.long 0xD1196A01, 0x00011B01
.long 0x92448D26
.long 0xD1340002, 0x00008902
	;; [unrolled: 34-line block ×3, first 2 shown]
.long 0x92448D24
.long 0xD1340003, 0x00008903
.long 0xD0C90044, 0x00003100
.long 0xD0C90048, 0x00003301
.long 0x86C84844
.long 0xD1FE003A, 0x020A0103
.long 0xD100003A, 0x0122754E
.long 0xD1196A01, 0x00010301
.long 0xD1340002, 0x00004D02
.long 0xD1340003, 0x00004903
.long 0xD0C90044, 0x00003100
.long 0xD0C90048, 0x00003301
.long 0x86C84844
.long 0xD1FE003B, 0x020A0103
.long 0xD100003B, 0x0122774E
.long 0xD1196A01, 0x00010301
.long 0xD1340002, 0x00004D02
	;; [unrolled: 8-line block ×4, first 2 shown]
.long 0xD3D8400A, 0x18000108
.long 0xD3D8400B, 0x1800010C
	;; [unrolled: 1-line block ×62, first 2 shown]
.long 0xBF800001
.long 0xE07C1000, 0x80040806
.long 0xE07C1000, 0x80040C07
	;; [unrolled: 1-line block ×16, first 2 shown]
.long 0xBF800000
.long 0x7E9C02FF, 0x80000000
.long 0xD1196A01, 0x00011B01
.long 0x92448D26
.long 0xD1340002, 0x00008902
.long 0x92448D24
.long 0xD1340003, 0x00008903
.long 0xD0C90044, 0x00003100
.long 0xD0C90048, 0x00003301
.long 0x86C84844
.long 0xD1FE0006, 0x020A0103
.long 0xD1000006, 0x01220D4E
.long 0xD1196A01, 0x00010301
.long 0xD1340002, 0x00004D02
.long 0xD1340003, 0x00004903
.long 0xD0C90044, 0x00003100
.long 0xD0C90048, 0x00003301
.long 0x86C84844
.long 0xD1FE0007, 0x020A0103
.long 0xD1000007, 0x01220F4E
.long 0xD1196A01, 0x00010301
.long 0xD1340002, 0x00004D02
.long 0xD1340003, 0x00004903
.long 0xD0C90044, 0x00003100
.long 0xD0C90048, 0x00003301
.long 0x86C84844
.long 0xD1FE0010, 0x020A0103
.long 0xD1000010, 0x0122214E
.long 0xD1196A01, 0x00010301
.long 0xD1340002, 0x00004D02
.long 0xD1340003, 0x00004903
.long 0xD0C90044, 0x00003100
.long 0xD0C90048, 0x00003301
.long 0x86C84844
.long 0xD1FE0011, 0x020A0103
.long 0xD1000011, 0x0122234E
.long 0xD1196A01, 0x00011B01
.long 0x92448D26
.long 0xD1340002, 0x00008902
.long 0x92448D24
.long 0xD1340003, 0x00008903
.long 0xD0C90044, 0x00003100
.long 0xD0C90048, 0x00003301
.long 0x86C84844
.long 0xD1FE0012, 0x020A0103
.long 0xD1000012, 0x0122254E
.long 0xD1196A01, 0x00010301
.long 0xD1340002, 0x00004D02
.long 0xD1340003, 0x00004903
.long 0xD0C90044, 0x00003100
.long 0xD0C90048, 0x00003301
.long 0x86C84844
.long 0xD1FE0013, 0x020A0103
.long 0xD1000013, 0x0122274E
.long 0xD1196A01, 0x00010301
.long 0xD1340002, 0x00004D02
.long 0xD1340003, 0x00004903
.long 0xD0C90044, 0x00003100
.long 0xD0C90048, 0x00003301
.long 0x86C84844
.long 0xD1FE0024, 0x020A0103
.long 0xD1000024, 0x0122494E
.long 0xD1196A01, 0x00010301
.long 0xD1340002, 0x00004D02
.long 0xD1340003, 0x00004903
.long 0xD0C90044, 0x00003100
.long 0xD0C90048, 0x00003301
.long 0x86C84844
.long 0xD1FE0025, 0x020A0103
	;; [unrolled: 34-line block ×4, first 2 shown]
.long 0xD100004D, 0x01229B4E
.long 0xD3D84008, 0x18000140
	;; [unrolled: 1-line block ×65, first 2 shown]
.long 0xBF800001
.long 0xE07C1000, 0x80040806
.long 0xE07C1000, 0x80040C07
	;; [unrolled: 1-line block ×16, first 2 shown]
.long 0xBF800000
.long 0x7E9C02FF, 0x80000000
.long 0xD1196A01, 0x00011B01
.long 0x92448D26
.long 0xD1340002, 0x00008902
.long 0x92448D24
.long 0xD1340003, 0x00008903
.long 0xD0C90044, 0x00003100
.long 0xD0C90048, 0x00003301
.long 0x86C84844
.long 0xD1FE0006, 0x020A0103
.long 0xD1000006, 0x01220D4E
.long 0xD1196A01, 0x00010301
.long 0xD1340002, 0x00004D02
.long 0xD1340003, 0x00004903
.long 0xD0C90044, 0x00003100
.long 0xD0C90048, 0x00003301
.long 0x86C84844
.long 0xD1FE0007, 0x020A0103
.long 0xD1000007, 0x01220F4E
.long 0xD1196A01, 0x00010301
.long 0xD1340002, 0x00004D02
.long 0xD1340003, 0x00004903
.long 0xD0C90044, 0x00003100
.long 0xD0C90048, 0x00003301
.long 0x86C84844
.long 0xD1FE0010, 0x020A0103
.long 0xD1000010, 0x0122214E
.long 0xD1196A01, 0x00010301
.long 0xD1340002, 0x00004D02
.long 0xD1340003, 0x00004903
.long 0xD0C90044, 0x00003100
.long 0xD0C90048, 0x00003301
.long 0x86C84844
.long 0xD1FE0011, 0x020A0103
.long 0xD1000011, 0x0122234E
.long 0xD1196A01, 0x00011B01
.long 0x92448D26
.long 0xD1340002, 0x00008902
.long 0x92448D24
.long 0xD1340003, 0x00008903
.long 0xD0C90044, 0x00003100
.long 0xD0C90048, 0x00003301
.long 0x86C84844
.long 0xD1FE0012, 0x020A0103
.long 0xD1000012, 0x0122254E
.long 0xD1196A01, 0x00010301
.long 0xD1340002, 0x00004D02
.long 0xD1340003, 0x00004903
.long 0xD0C90044, 0x00003100
.long 0xD0C90048, 0x00003301
.long 0x86C84844
.long 0xD1FE0013, 0x020A0103
.long 0xD1000013, 0x0122274E
.long 0xD1196A01, 0x00010301
.long 0xD1340002, 0x00004D02
.long 0xD1340003, 0x00004903
.long 0xD0C90044, 0x00003100
.long 0xD0C90048, 0x00003301
.long 0x86C84844
.long 0xD1FE0024, 0x020A0103
.long 0xD1000024, 0x0122494E
.long 0xD1196A01, 0x00010301
.long 0xD1340002, 0x00004D02
.long 0xD1340003, 0x00004903
.long 0xD0C90044, 0x00003100
.long 0xD0C90048, 0x00003301
.long 0x86C84844
.long 0xD1FE0025, 0x020A0103
	;; [unrolled: 34-line block ×4, first 2 shown]
.long 0xD100004D, 0x01229B4E
.long 0xD3D84008, 0x18000180
	;; [unrolled: 1-line block ×65, first 2 shown]
.long 0xBF800001
.long 0xE07C1000, 0x80040806
.long 0xE07C1000, 0x80040C07
	;; [unrolled: 1-line block ×16, first 2 shown]
.long 0xBF800000
.long 0x7E9C02FF, 0x80000000
.long 0xD1196A01, 0x00011B01
.long 0x92448D26
.long 0xD1340002, 0x00008902
.long 0x92448D24
.long 0xD1340003, 0x00008903
.long 0xD0C90044, 0x00003100
.long 0xD0C90048, 0x00003301
.long 0x86C84844
.long 0xD1FE0006, 0x020A0103
.long 0xD1000006, 0x01220D4E
.long 0xD1196A01, 0x00010301
.long 0xD1340002, 0x00004D02
.long 0xD1340003, 0x00004903
.long 0xD0C90044, 0x00003100
.long 0xD0C90048, 0x00003301
.long 0x86C84844
.long 0xD1FE0007, 0x020A0103
.long 0xD1000007, 0x01220F4E
.long 0xD1196A01, 0x00010301
.long 0xD1340002, 0x00004D02
.long 0xD1340003, 0x00004903
.long 0xD0C90044, 0x00003100
.long 0xD0C90048, 0x00003301
.long 0x86C84844
.long 0xD1FE0010, 0x020A0103
.long 0xD1000010, 0x0122214E
.long 0xD1196A01, 0x00010301
.long 0xD1340002, 0x00004D02
.long 0xD1340003, 0x00004903
.long 0xD0C90044, 0x00003100
.long 0xD0C90048, 0x00003301
.long 0x86C84844
.long 0xD1FE0011, 0x020A0103
.long 0xD1000011, 0x0122234E
.long 0xD1196A01, 0x00011B01
.long 0x92448D26
.long 0xD1340002, 0x00008902
.long 0x92448D24
.long 0xD1340003, 0x00008903
.long 0xD0C90044, 0x00003100
.long 0xD0C90048, 0x00003301
.long 0x86C84844
.long 0xD1FE0012, 0x020A0103
.long 0xD1000012, 0x0122254E
.long 0xD1196A01, 0x00010301
.long 0xD1340002, 0x00004D02
.long 0xD1340003, 0x00004903
.long 0xD0C90044, 0x00003100
.long 0xD0C90048, 0x00003301
.long 0x86C84844
.long 0xD1FE0013, 0x020A0103
.long 0xD1000013, 0x0122274E
.long 0xD1196A01, 0x00010301
.long 0xD1340002, 0x00004D02
.long 0xD1340003, 0x00004903
.long 0xD0C90044, 0x00003100
.long 0xD0C90048, 0x00003301
.long 0x86C84844
.long 0xD1FE0024, 0x020A0103
.long 0xD1000024, 0x0122494E
.long 0xD1196A01, 0x00010301
.long 0xD1340002, 0x00004D02
.long 0xD1340003, 0x00004903
.long 0xD0C90044, 0x00003100
.long 0xD0C90048, 0x00003301
.long 0x86C84844
.long 0xD1FE0025, 0x020A0103
	;; [unrolled: 34-line block ×4, first 2 shown]
.long 0xD100004D, 0x01229B4E
.long 0xD3D84008, 0x180001C0
	;; [unrolled: 1-line block ×65, first 2 shown]
.long 0xBF800001
.long 0xE07C1000, 0x80040806
.long 0xE07C1000, 0x80040C07
	;; [unrolled: 1-line block ×16, first 2 shown]
.long 0xBF800000
.long 0x7E9C02FF, 0x80000000
.long 0xD1196A01, 0x00011B01
.long 0x92448D26
.long 0xD1340002, 0x00008902
.long 0x92448D24
.long 0xD1340003, 0x00008903
.long 0xD0C90044, 0x00003100
.long 0xD0C90048, 0x00003301
.long 0x86C84844
.long 0xD1FE0006, 0x020A0103
.long 0xD1000006, 0x01220D4E
.long 0xD1196A01, 0x00010301
.long 0xD1340002, 0x00004D02
.long 0xD1340003, 0x00004903
.long 0xD0C90044, 0x00003100
.long 0xD0C90048, 0x00003301
.long 0x86C84844
.long 0xD1FE0007, 0x020A0103
.long 0xD1000007, 0x01220F4E
.long 0xD1196A01, 0x00010301
.long 0xD1340002, 0x00004D02
.long 0xD1340003, 0x00004903
.long 0xD0C90044, 0x00003100
.long 0xD0C90048, 0x00003301
.long 0x86C84844
.long 0xD1FE0010, 0x020A0103
.long 0xD1000010, 0x0122214E
.long 0xD1196A01, 0x00010301
.long 0xD1340002, 0x00004D02
.long 0xD1340003, 0x00004903
.long 0xD0C90044, 0x00003100
.long 0xD0C90048, 0x00003301
.long 0x86C84844
.long 0xD1FE0011, 0x020A0103
.long 0xD1000011, 0x0122234E
.long 0xD1196A01, 0x00011B01
.long 0x92448D26
.long 0xD1340002, 0x00008902
.long 0x92448D24
.long 0xD1340003, 0x00008903
.long 0xD0C90044, 0x00003100
.long 0xD0C90048, 0x00003301
.long 0x86C84844
.long 0xD1FE0012, 0x020A0103
.long 0xD1000012, 0x0122254E
.long 0xD1196A01, 0x00010301
.long 0xD1340002, 0x00004D02
.long 0xD1340003, 0x00004903
.long 0xD0C90044, 0x00003100
.long 0xD0C90048, 0x00003301
.long 0x86C84844
.long 0xD1FE0013, 0x020A0103
.long 0xD1000013, 0x0122274E
.long 0xD1196A01, 0x00010301
.long 0xD1340002, 0x00004D02
.long 0xD1340003, 0x00004903
.long 0xD0C90044, 0x00003100
.long 0xD0C90048, 0x00003301
.long 0x86C84844
.long 0xD1FE0024, 0x020A0103
.long 0xD1000024, 0x0122494E
.long 0xD1196A01, 0x00010301
.long 0xD1340002, 0x00004D02
.long 0xD1340003, 0x00004903
.long 0xD0C90044, 0x00003100
.long 0xD0C90048, 0x00003301
.long 0x86C84844
.long 0xD1FE0025, 0x020A0103
	;; [unrolled: 34-line block ×4, first 2 shown]
.long 0xD100004D, 0x01229B4E
.long 0x7E1003C0
.long 0x7E1203C4
	;; [unrolled: 1-line block ×65, first 2 shown]
.long 0xE07C1000, 0x80040806
.long 0xE07C1000, 0x80040C07
	;; [unrolled: 1-line block ×16, first 2 shown]
.long 0xBF800000
.long 0xBF820000
	;; [unrolled: 1-line block ×3, first 2 shown]
.long 0x814684FF, 0x00012C44
.long 0x80444644
.long 0x82458045
.long 0xBE801D44
.long 0xBEBC0030
.long 0xBEBD0031
.long 0xBEBF00FF, 0x00020000
.long 0xBF128030
.long 0xBF840002
	;; [unrolled: 1-line block ×12, first 2 shown]
.long 0xBEC300FF, 0x00020000
.long 0xBF128032
.long 0xBF840002
	;; [unrolled: 1-line block ×8, first 2 shown]
.long 0x920502FF, 0x00000100
.long 0x68112405
.long 0x92050435
	;; [unrolled: 1-line block ×4, first 2 shown]
.long 0xE0501000, 0x80100408
.long 0x24112482
.long 0xBF8C0F70
.long 0xBF8A0000
.long 0xD81A0000, 0x00000408
.long 0xBF820012
.long 0xB4B40004
.long 0xBF850010
.long 0x92424282
.long 0x920502FF, 0x00000100
.long 0x68112405
	;; [unrolled: 5-line block ×4, first 2 shown]
.long 0xB4380001
.long 0xBF850014
.long 0xB4380002
.long 0xBF850018
.long 0xB4380003
.long 0xBF85001C
.long 0xB4380004
.long 0xBF850020
.long 0xB4380005
.long 0xBF850024
.long 0xB4380006
.long 0xBF850028
.long 0xB4380007
.long 0xBF85002C
.long 0xB4380009
.long 0xBF850030
.long 0xBEBA1C00
.long 0x810584FF, 0x00012B08
.long 0x803A053A
.long 0x823B803B
.long 0xBF820030
.long 0xBEBA1C00
.long 0x810584FF, 0x00012AF4
.long 0x803A053A
.long 0x823B803B
.long 0xBF82002A
.long 0xBEBA1C00
	;; [unrolled: 5-line block ×9, first 2 shown]
.long 0xBF8420DB
.long 0x864618FF, 0x000000FF
.long 0x80470DC1
.long 0xBF094702
	;; [unrolled: 1-line block ×6, first 2 shown]
.long 0x924819FF, 0x00000199
.long 0x8EC89048
.long 0x9247FF19, 0x0000999A
.long 0x80484847
.long 0x82498049
	;; [unrolled: 1-line block ×4, first 2 shown]
.long 0x9248FF47, 0x00000140
.long 0x80C64819
.long 0x80470EC1
	;; [unrolled: 1-line block ×6, first 2 shown]
.long 0x924602FF, 0x00000100
.long 0xD135000B, 0x00008D00
.long 0x24161682
.long 0xBF8CC07F
	;; [unrolled: 1-line block ×3, first 2 shown]
.long 0xD9FE0000, 0x1000000B
.long 0x24180082
.long 0xE05C1000, 0x800F140C
.long 0xD1FE0009, 0x020A0103
	;; [unrolled: 1-line block ×50, first 2 shown]
.long 0xBF800001
.long 0x0A30302C
	;; [unrolled: 1-line block ×50, first 2 shown]
.long 0xD0CC0030, 0x0001003E
.long 0xD1000014, 0x00C228F2
	;; [unrolled: 1-line block ×10, first 2 shown]
.long 0xBEC41E3A
.long 0x7E300304
.long 0x7E320305
.long 0x7E340306
.long 0x7E360307
.long 0xE07C1000, 0x80041809
.long 0xD0CC0030, 0x0001003E
.long 0xD1000014, 0x00C228F2
.long 0xD1000015, 0x00C22AF2
.long 0xD3B1401C, 0x18023914
.long 0xD0CC0030, 0x0001003E
.long 0xD1000016, 0x00C22CF2
.long 0xD1000017, 0x00C22EF2
.long 0xD3B1401E, 0x18023D16
.long 0xD3B24004, 0x18023910
.long 0xD3B24006, 0x18023D12
.long 0xBEC41E3A
.long 0x7E380304
.long 0x7E3A0305
.long 0x7E3C0306
.long 0x7E3E0307
.long 0x8E468224
.long 0x80104610
.long 0x82118011
.long 0xE07C1000, 0x80041C09
.long 0xD0CC0030, 0x0001003E
.long 0xD1000014, 0x00C228F2
.long 0xD1000015, 0x00C22AF2
.long 0xD3B14020, 0x18024114
.long 0xD0CC0030, 0x0001003E
.long 0xD1000016, 0x00C22CF2
.long 0xD1000017, 0x00C22EF2
.long 0xD3B14022, 0x18024516
.long 0xD3B24004, 0x18024110
.long 0xD3B24006, 0x18024512
.long 0xBEC41E3A
.long 0x7E400304
.long 0x7E420305
	;; [unrolled: 19-line block ×11, first 2 shown]
.long 0x7E8C0306
.long 0x7E8E0307
	;; [unrolled: 1-line block ×5, first 2 shown]
.long 0xE07C1000, 0x80044409
.long 0xBF800000
.long 0x924602FF, 0x00000100
.long 0xD135000B, 0x00008D00
.long 0x24161682
.long 0xD9FE0000, 0x1000000B
.long 0xE05C1000, 0x800F140C
	;; [unrolled: 1-line block ×50, first 2 shown]
.long 0xBF800001
.long 0x0A30302C
	;; [unrolled: 1-line block ×50, first 2 shown]
.long 0xD0CC0030, 0x0001003E
.long 0xD1000014, 0x00C228F2
.long 0xD1000015, 0x00C22AF2
.long 0xD3B14018, 0x18023114
.long 0xD0CC0030, 0x0001003E
.long 0xD1000016, 0x00C22CF2
.long 0xD1000017, 0x00C22EF2
.long 0xD3B1401A, 0x18023516
.long 0xD3B24004, 0x18023110
.long 0xD3B24006, 0x18023512
.long 0xBEC41E3A
.long 0x7E300304
.long 0x7E320305
.long 0x7E340306
.long 0x7E360307
.long 0x9246B424
.long 0x80104610
.long 0x82118011
.long 0xE07C1000, 0x80041809
.long 0xD0CC0030, 0x0001003E
.long 0xD1000014, 0x00C228F2
.long 0xD1000015, 0x00C22AF2
.long 0xD3B1401C, 0x18023914
.long 0xD0CC0030, 0x0001003E
.long 0xD1000016, 0x00C22CF2
.long 0xD1000017, 0x00C22EF2
.long 0xD3B1401E, 0x18023D16
.long 0xD3B24004, 0x18023910
.long 0xD3B24006, 0x18023D12
.long 0xBEC41E3A
.long 0x7E380304
.long 0x7E3A0305
.long 0x7E3C0306
.long 0x7E3E0307
.long 0x8E468224
.long 0x80104610
.long 0x82118011
.long 0xE07C1000, 0x80041C09
	;; [unrolled: 19-line block ×12, first 2 shown]
.long 0xBF800000
.long 0x924602FF, 0x00000100
.long 0xD135000B, 0x00008D00
.long 0x24161682
.long 0xD9FE0000, 0x1000000B
.long 0xE05C1000, 0x800F140C
	;; [unrolled: 1-line block ×50, first 2 shown]
.long 0xBF800001
.long 0x0A30302C
	;; [unrolled: 1-line block ×50, first 2 shown]
.long 0xD0CC0030, 0x0001003E
.long 0xD1000014, 0x00C228F2
.long 0xD1000015, 0x00C22AF2
.long 0xD3B14018, 0x18023114
.long 0xD0CC0030, 0x0001003E
.long 0xD1000016, 0x00C22CF2
.long 0xD1000017, 0x00C22EF2
.long 0xD3B1401A, 0x18023516
.long 0xD3B24004, 0x18023110
.long 0xD3B24006, 0x18023512
.long 0xBEC41E3A
.long 0x7E300304
.long 0x7E320305
.long 0x7E340306
.long 0x7E360307
.long 0x9246B424
.long 0x80104610
.long 0x82118011
.long 0xE07C1000, 0x80041809
.long 0xD0CC0030, 0x0001003E
.long 0xD1000014, 0x00C228F2
.long 0xD1000015, 0x00C22AF2
.long 0xD3B1401C, 0x18023914
.long 0xD0CC0030, 0x0001003E
.long 0xD1000016, 0x00C22CF2
.long 0xD1000017, 0x00C22EF2
.long 0xD3B1401E, 0x18023D16
.long 0xD3B24004, 0x18023910
.long 0xD3B24006, 0x18023D12
.long 0xBEC41E3A
.long 0x7E380304
.long 0x7E3A0305
.long 0x7E3C0306
.long 0x7E3E0307
.long 0x8E468224
.long 0x80104610
.long 0x82118011
.long 0xE07C1000, 0x80041C09
	;; [unrolled: 19-line block ×12, first 2 shown]
.long 0xBF800000
.long 0x924602FF, 0x00000100
.long 0xD135000B, 0x00008D00
.long 0x24161682
.long 0xD9FE0000, 0x1000000B
.long 0xE05C1000, 0x800F140C
	;; [unrolled: 1-line block ×50, first 2 shown]
.long 0xBF800001
.long 0x0A30302C
.long 0x0A32322C
.long 0x0A34342C
.long 0x0A36362C
.long 0x0A38382C
.long 0x0A3A3A2C
.long 0x0A3C3C2C
.long 0x0A3E3E2C
.long 0x0A40402C
.long 0x0A42422C
.long 0x0A44442C
.long 0x0A46462C
.long 0x0A48482C
.long 0x0A4A4A2C
.long 0x0A4C4C2C
.long 0x0A4E4E2C
.long 0x0A50502C
.long 0x0A52522C
.long 0x0A54542C
.long 0x0A56562C
.long 0x0A58582C
.long 0x0A5A5A2C
.long 0x0A5C5C2C
.long 0x0A5E5E2C
.long 0x0A60602C
.long 0x0A62622C
.long 0x0A64642C
.long 0x0A66662C
.long 0x0A68682C
.long 0x0A6A6A2C
.long 0x0A6C6C2C
.long 0x0A6E6E2C
.long 0x0A70702C
.long 0x0A72722C
.long 0x0A74742C
.long 0x0A76762C
.long 0x0A78782C
.long 0x0A7A7A2C
.long 0x0A7C7C2C
.long 0x0A7E7E2C
.long 0x0A80802C
.long 0x0A82822C
.long 0x0A84842C
.long 0x0A86862C
.long 0x0A88882C
.long 0x0A8A8A2C
.long 0x0A8C8C2C
.long 0x0A8E8E2C
.long 0xBF8C0000
.long 0xD0CC0030, 0x0001003E
.long 0xD1000014, 0x00C228F2
.long 0xD1000015, 0x00C22AF2
.long 0xD3B14018, 0x18023114
.long 0xD0CC0030, 0x0001003E
.long 0xD1000016, 0x00C22CF2
.long 0xD1000017, 0x00C22EF2
.long 0xD3B1401A, 0x18023516
.long 0xD3B24004, 0x18023110
.long 0xD3B24006, 0x18023512
.long 0xBEC41E3A
.long 0x7E300304
.long 0x7E320305
.long 0x7E340306
.long 0x7E360307
.long 0x9246B424
.long 0x80104610
.long 0x82118011
.long 0xE07C1000, 0x80041809
.long 0xD0CC0030, 0x0001003E
.long 0xD1000014, 0x00C228F2
.long 0xD1000015, 0x00C22AF2
.long 0xD3B1401C, 0x18023914
.long 0xD0CC0030, 0x0001003E
.long 0xD1000016, 0x00C22CF2
.long 0xD1000017, 0x00C22EF2
.long 0xD3B1401E, 0x18023D16
.long 0xD3B24004, 0x18023910
.long 0xD3B24006, 0x18023D12
.long 0xBEC41E3A
.long 0x7E380304
.long 0x7E3A0305
.long 0x7E3C0306
.long 0x7E3E0307
.long 0x8E468224
.long 0x80104610
.long 0x82118011
.long 0xE07C1000, 0x80041C09
	;; [unrolled: 19-line block ×12, first 2 shown]
.long 0xBF800000
.long 0x924602FF, 0x00000100
.long 0xD135000B, 0x00008D00
.long 0x24161682
.long 0xD9FE0000, 0x1000000B
.long 0xE05C1000, 0x800F140C
.long 0xD3D84018, 0x180001C0
.long 0xD3D84019, 0x180001C4
.long 0xD3D8401A, 0x180001C8
.long 0xD3D8401B, 0x180001CC
.long 0xD3D8401C, 0x180001C1
.long 0xD3D8401D, 0x180001C5
.long 0xD3D8401E, 0x180001C9
.long 0xD3D8401F, 0x180001CD
.long 0xD3D84020, 0x180001C2
.long 0xD3D84021, 0x180001C6
.long 0xD3D84022, 0x180001CA
.long 0xD3D84023, 0x180001CE
.long 0xD3D84024, 0x180001C3
.long 0xD3D84025, 0x180001C7
.long 0xD3D84026, 0x180001CB
.long 0xD3D84027, 0x180001CF
.long 0xD3D84028, 0x180001D0
.long 0xD3D84029, 0x180001D4
.long 0xD3D8402A, 0x180001D8
.long 0xD3D8402B, 0x180001DC
.long 0xD3D8402C, 0x180001D1
.long 0xD3D8402D, 0x180001D5
.long 0xD3D8402E, 0x180001D9
.long 0xD3D8402F, 0x180001DD
.long 0xD3D84030, 0x180001D2
.long 0xD3D84031, 0x180001D6
.long 0xD3D84032, 0x180001DA
.long 0xD3D84033, 0x180001DE
.long 0xD3D84034, 0x180001D3
.long 0xD3D84035, 0x180001D7
.long 0xD3D84036, 0x180001DB
.long 0xD3D84037, 0x180001DF
.long 0xD3D84038, 0x180001E0
.long 0xD3D84039, 0x180001E4
.long 0xD3D8403A, 0x180001E8
.long 0xD3D8403B, 0x180001EC
.long 0xD3D8403C, 0x180001E1
.long 0xD3D8403D, 0x180001E5
.long 0xD3D8403E, 0x180001E9
.long 0xD3D8403F, 0x180001ED
.long 0xD3D84040, 0x180001E2
.long 0xD3D84041, 0x180001E6
.long 0xD3D84042, 0x180001EA
.long 0xD3D84043, 0x180001EE
.long 0xD3D84044, 0x180001E3
.long 0xD3D84045, 0x180001E7
.long 0xD3D84046, 0x180001EB
.long 0xD3D84047, 0x180001EF
.long 0xBF800001
.long 0x0A30302C
	;; [unrolled: 1-line block ×50, first 2 shown]
.long 0xD0CC0030, 0x0001003E
.long 0xD1000014, 0x00C228F2
.long 0xD1000015, 0x00C22AF2
.long 0xD3B14018, 0x18023114
.long 0xD0CC0030, 0x0001003E
.long 0xD1000016, 0x00C22CF2
.long 0xD1000017, 0x00C22EF2
.long 0xD3B1401A, 0x18023516
.long 0xD3B24004, 0x18023110
.long 0xD3B24006, 0x18023512
.long 0xBEC41E3A
.long 0x7E300304
.long 0x7E320305
.long 0x7E340306
.long 0x7E360307
.long 0x9246B424
.long 0x80104610
.long 0x82118011
.long 0xE07C1000, 0x80041809
.long 0xD0CC0030, 0x0001003E
.long 0xD1000014, 0x00C228F2
.long 0xD1000015, 0x00C22AF2
.long 0xD3B1401C, 0x18023914
.long 0xD0CC0030, 0x0001003E
.long 0xD1000016, 0x00C22CF2
.long 0xD1000017, 0x00C22EF2
.long 0xD3B1401E, 0x18023D16
.long 0xD3B24004, 0x18023910
.long 0xD3B24006, 0x18023D12
.long 0xBEC41E3A
.long 0x7E380304
.long 0x7E3A0305
.long 0x7E3C0306
.long 0x7E3E0307
.long 0x8E468224
.long 0x80104610
.long 0x82118011
.long 0xE07C1000, 0x80041C09
	;; [unrolled: 19-line block ×12, first 2 shown]
.long 0xBF800000
.long 0x924602FF, 0x00000100
.long 0xD135000B, 0x00008D00
.long 0x24161682
.long 0xD9FE0000, 0x1000000B
.long 0xE05C1000, 0x800F140C
	;; [unrolled: 1-line block ×18, first 2 shown]
.long 0x7E5003C0
.long 0x7E5203C4
	;; [unrolled: 1-line block ×82, first 2 shown]
.long 0xD0CC0030, 0x0001003E
.long 0xD1000014, 0x00C228F2
.long 0xD1000015, 0x00C22AF2
.long 0xD3B14018, 0x18023114
.long 0xD0CC0030, 0x0001003E
.long 0xD1000016, 0x00C22CF2
.long 0xD1000017, 0x00C22EF2
.long 0xD3B1401A, 0x18023516
.long 0xD3B24004, 0x18023110
.long 0xD3B24006, 0x18023512
.long 0xBEC41E3A
.long 0x7E300304
.long 0x7E320305
.long 0x7E340306
.long 0x7E360307
.long 0x9246B424
.long 0x80104610
.long 0x82118011
.long 0xE07C1000, 0x80041809
.long 0xD0CC0030, 0x0001003E
.long 0xD1000014, 0x00C228F2
.long 0xD1000015, 0x00C22AF2
.long 0xD3B1401C, 0x18023914
.long 0xD0CC0030, 0x0001003E
.long 0xD1000016, 0x00C22CF2
.long 0xD1000017, 0x00C22EF2
.long 0xD3B1401E, 0x18023D16
.long 0xD3B24004, 0x18023910
.long 0xD3B24006, 0x18023D12
.long 0xBEC41E3A
.long 0x7E380304
.long 0x7E3A0305
.long 0x7E3C0306
.long 0x7E3E0307
.long 0x8E468224
.long 0x80104610
.long 0x82118011
.long 0xE07C1000, 0x80041C09
	;; [unrolled: 19-line block ×12, first 2 shown]
.long 0xBF800000
.long 0x924602FF, 0x00000100
.long 0xD135000B, 0x00008D00
.long 0x24161682
.long 0xD9FE0000, 0x1000000B
.long 0xE05C1000, 0x800F140C
.long 0x7E3003E0
.long 0x7E3203E4
	;; [unrolled: 1-line block ×66, first 2 shown]
.long 0xD0CC0030, 0x0001003E
.long 0xD1000014, 0x00C228F2
.long 0xD1000015, 0x00C22AF2
.long 0xD3B14018, 0x18023114
.long 0xD0CC0030, 0x0001003E
.long 0xD1000016, 0x00C22CF2
.long 0xD1000017, 0x00C22EF2
.long 0xD3B1401A, 0x18023516
.long 0xD3B24004, 0x18023110
.long 0xD3B24006, 0x18023512
.long 0xBEC41E3A
.long 0x7E300304
.long 0x7E320305
.long 0x7E340306
.long 0x7E360307
.long 0x9246B424
.long 0x80104610
.long 0x82118011
.long 0xE07C1000, 0x80041809
.long 0xD0CC0030, 0x0001003E
.long 0xD1000014, 0x00C228F2
.long 0xD1000015, 0x00C22AF2
.long 0xD3B1401C, 0x18023914
.long 0xD0CC0030, 0x0001003E
.long 0xD1000016, 0x00C22CF2
.long 0xD1000017, 0x00C22EF2
.long 0xD3B1401E, 0x18023D16
.long 0xD3B24004, 0x18023910
.long 0xD3B24006, 0x18023D12
.long 0xBEC41E3A
.long 0x7E380304
.long 0x7E3A0305
.long 0x7E3C0306
.long 0x7E3E0307
.long 0x8E468224
.long 0x80104610
.long 0x82118011
.long 0xE07C1000, 0x80041C09
	;; [unrolled: 19-line block ×8, first 2 shown]
.long 0xBF800000
.long 0xBF823D3B
.long 0x7EA602FF, 0x80000000
.long 0xD0C90046, 0x00003100
	;; [unrolled: 1-line block ×3, first 2 shown]
.long 0x86CA4A46
.long 0x924602FF, 0x00000100
.long 0xD135000A, 0x00008D00
.long 0x24141482
.long 0xD100000A, 0x012A1553
.long 0xBF8CC07F
.long 0xBF8A0000
.long 0xD9FE0000, 0x0C00000A
.long 0x24160082
.long 0xE05C1000, 0x800F100B
.long 0xD1FE0009, 0x020A0103
	;; [unrolled: 1-line block ×8, first 2 shown]
.long 0x86CA4A46
.long 0x924602FF, 0x00000100
.long 0xD1350019, 0x00008D00
.long 0x24323282
.long 0xD1000019, 0x012A3353
.long 0x24340082
.long 0xD1FE0018, 0x020A0103
.long 0xD1000018, 0x012A3153
	;; [unrolled: 1-line block ×7, first 2 shown]
.long 0x86CA4A46
.long 0x924602FF, 0x00000100
.long 0xD1350020, 0x00008D00
.long 0x24404082
.long 0xD1000020, 0x012A4153
.long 0x24420082
.long 0xD1FE001B, 0x020A0103
.long 0xD100001B, 0x012A3753
	;; [unrolled: 1-line block ×7, first 2 shown]
.long 0x86CA4A46
.long 0x924602FF, 0x00000100
.long 0xD1350023, 0x00008D00
.long 0x24464682
.long 0xD1000023, 0x012A4753
.long 0x24500082
.long 0xD1FE0022, 0x020A0103
.long 0xD1000022, 0x012A4553
	;; [unrolled: 1-line block ×3, first 2 shown]
.long 0x92468D26
.long 0xD1340002, 0x00008D02
.long 0x92468D24
.long 0xD1340003, 0x00008D03
.long 0xD0C90046, 0x00003100
.long 0xD0C9004A, 0x00003301
.long 0x86CA4A46
.long 0x924602FF, 0x00000100
.long 0xD135002A, 0x00008D00
.long 0x24545482
.long 0xD100002A, 0x012A5553
.long 0x24560082
.long 0xD1FE0029, 0x020A0103
.long 0xD1000029, 0x012A5353
.long 0xD1196A01, 0x00010301
.long 0xD1340002, 0x00004D02
.long 0xD1340003, 0x00004903
.long 0xD0C90046, 0x00003100
.long 0xD0C9004A, 0x00003301
.long 0x86CA4A46
.long 0x924602FF, 0x00000100
.long 0xD1350035, 0x00008D00
.long 0x246A6A82
.long 0xD1000035, 0x012A6B53
.long 0x246C0082
.long 0xD1FE0034, 0x020A0103
.long 0xD1000034, 0x012A6953
.long 0xD1196A01, 0x00010301
.long 0xD1340002, 0x00004D02
	;; [unrolled: 13-line block ×3, first 2 shown]
.long 0xD1340003, 0x00004903
.long 0xD0C90046, 0x00003100
	;; [unrolled: 1-line block ×3, first 2 shown]
.long 0x86CA4A46
.long 0x924602FF, 0x00000100
.long 0xD135003F, 0x00008D00
.long 0x247E7E82
.long 0xD100003F, 0x012A7F53
.long 0x24880082
.long 0xD1FE003E, 0x020A0103
.long 0xD100003E, 0x012A7D53
	;; [unrolled: 1-line block ×3, first 2 shown]
.long 0x92468D26
.long 0xD1340002, 0x00008D02
.long 0x92468D24
.long 0xD1340003, 0x00008D03
.long 0xD0C90046, 0x00003100
	;; [unrolled: 1-line block ×3, first 2 shown]
.long 0x86CA4A46
.long 0x924602FF, 0x00000100
.long 0xD1350046, 0x00008D00
.long 0x248C8C82
.long 0xD1000046, 0x012A8D53
.long 0x248E0082
.long 0xD1FE0045, 0x020A0103
.long 0xD1000045, 0x012A8B53
	;; [unrolled: 1-line block ×7, first 2 shown]
.long 0x86CA4A46
.long 0x924602FF, 0x00000100
.long 0xD1350051, 0x00008D00
.long 0x24A2A282
.long 0xD1000051, 0x012AA353
.long 0x24A40082
.long 0xD1FE0050, 0x020A0103
.long 0xD1000050, 0x012AA153
	;; [unrolled: 1-line block ×42, first 2 shown]
.long 0xBF800001
.long 0x0A28282C
	;; [unrolled: 1-line block ×42, first 2 shown]
.long 0xD0CC0030, 0x0001003E
.long 0xD1000010, 0x00C220F2
.long 0xD1000011, 0x00C222F2
.long 0xD3B14014, 0x18022910
.long 0xD0CC0030, 0x0001003E
.long 0xD1000012, 0x00C224F2
.long 0xD1000013, 0x00C226F2
.long 0xD3B14016, 0x18022D12
.long 0xD3B24004, 0x1802290C
.long 0xD3B24006, 0x18022D0E
.long 0xBEC41E3A
.long 0x7E280304
.long 0x7E2A0305
.long 0x7E2C0306
.long 0x7E2E0307
.long 0xE07C1000, 0x80041409
.long 0xD0CC0030, 0x0001003E
.long 0xD1000010, 0x00C220F2
.long 0xD1000011, 0x00C222F2
.long 0xD3B1401C, 0x18023910
.long 0xD0CC0030, 0x0001003E
.long 0xD1000012, 0x00C224F2
.long 0xD1000013, 0x00C226F2
.long 0xD3B1401E, 0x18023D12
.long 0xD3B24004, 0x1802390C
.long 0xD3B24006, 0x18023D0E
.long 0xBEC41E3A
.long 0x7E380304
.long 0x7E3A0305
.long 0x7E3C0306
.long 0x7E3E0307
.long 0xE07C1000, 0x80041C18
	;; [unrolled: 16-line block ×10, first 2 shown]
.long 0xBF800000
.long 0x7EA602FF, 0x80000000
.long 0xD1196A01, 0x00010301
	;; [unrolled: 1-line block ×6, first 2 shown]
.long 0x86CA4A46
.long 0x924602FF, 0x00000100
.long 0xD135000A, 0x00008D00
.long 0x24141482
.long 0xD100000A, 0x012A1553
.long 0xD9FE0000, 0x0C00000A
	;; [unrolled: 3-line block ×3, first 2 shown]
.long 0xD1000009, 0x012A1353
.long 0xD1196A01, 0x00010301
	;; [unrolled: 1-line block ×6, first 2 shown]
.long 0x86CA4A46
.long 0x924602FF, 0x00000100
.long 0xD1350019, 0x00008D00
.long 0x24323282
.long 0xD1000019, 0x012A3353
.long 0x24340082
.long 0xD1FE0018, 0x020A0103
.long 0xD1000018, 0x012A3153
	;; [unrolled: 1-line block ×3, first 2 shown]
.long 0x92468D26
.long 0xD1340002, 0x00008D02
.long 0x92468D24
.long 0xD1340003, 0x00008D03
.long 0xD0C90046, 0x00003100
.long 0xD0C9004A, 0x00003301
.long 0x86CA4A46
.long 0x924602FF, 0x00000100
.long 0xD1350020, 0x00008D00
.long 0x24404082
.long 0xD1000020, 0x012A4153
.long 0x24420082
.long 0xD1FE001B, 0x020A0103
.long 0xD100001B, 0x012A3753
.long 0xD1196A01, 0x00010301
.long 0xD1340002, 0x00004D02
.long 0xD1340003, 0x00004903
.long 0xD0C90046, 0x00003100
.long 0xD0C9004A, 0x00003301
.long 0x86CA4A46
.long 0x924602FF, 0x00000100
.long 0xD1350023, 0x00008D00
.long 0x24464682
.long 0xD1000023, 0x012A4753
.long 0x24500082
.long 0xD1FE0022, 0x020A0103
.long 0xD1000022, 0x012A4553
.long 0xD1196A01, 0x00010301
.long 0xD1340002, 0x00004D02
	;; [unrolled: 13-line block ×3, first 2 shown]
.long 0xD1340003, 0x00004903
.long 0xD0C90046, 0x00003100
	;; [unrolled: 1-line block ×3, first 2 shown]
.long 0x86CA4A46
.long 0x924602FF, 0x00000100
.long 0xD1350035, 0x00008D00
.long 0x246A6A82
.long 0xD1000035, 0x012A6B53
.long 0x246C0082
.long 0xD1FE0034, 0x020A0103
.long 0xD1000034, 0x012A6953
.long 0xD1196A01, 0x00011B01
.long 0x92468D26
.long 0xD1340002, 0x00008D02
.long 0x92468D24
.long 0xD1340003, 0x00008D03
.long 0xD0C90046, 0x00003100
.long 0xD0C9004A, 0x00003301
.long 0x86CA4A46
.long 0x924602FF, 0x00000100
.long 0xD135003C, 0x00008D00
.long 0x24787882
.long 0xD100003C, 0x012A7953
.long 0x247A0082
.long 0xD1FE0037, 0x020A0103
.long 0xD1000037, 0x012A6F53
.long 0xD1196A01, 0x00010301
.long 0xD1340002, 0x00004D02
.long 0xD1340003, 0x00004903
.long 0xD0C90046, 0x00003100
.long 0xD0C9004A, 0x00003301
.long 0x86CA4A46
.long 0x924602FF, 0x00000100
.long 0xD135003F, 0x00008D00
.long 0x247E7E82
.long 0xD100003F, 0x012A7F53
.long 0x24880082
.long 0xD1FE003E, 0x020A0103
.long 0xD100003E, 0x012A7D53
.long 0xD1196A01, 0x00010301
.long 0xD1340002, 0x00004D02
	;; [unrolled: 13-line block ×4, first 2 shown]
.long 0xD3D84016, 0x1800012A
.long 0xD3D84017, 0x1800012E
.long 0xD3D8401C, 0x18000123
.long 0xD3D8401D, 0x18000127
.long 0xD3D8401E, 0x1800012B
.long 0xD3D8401F, 0x1800012F
.long 0xD3D84024, 0x18000130
.long 0xD3D84025, 0x18000134
.long 0xD3D84026, 0x18000138
.long 0xD3D84027, 0x1800013C
.long 0xD3D8402C, 0x18000131
.long 0xD3D8402D, 0x18000135
.long 0xD3D8402E, 0x18000139
.long 0xD3D8402F, 0x1800013D
.long 0xD3D84030, 0x18000132
.long 0xD3D84031, 0x18000136
.long 0xD3D84032, 0x1800013A
.long 0xD3D84033, 0x1800013E
.long 0xD3D84038, 0x18000133
.long 0xD3D84039, 0x18000137
.long 0xD3D8403A, 0x1800013B
.long 0xD3D8403B, 0x1800013F
.long 0xD3D84040, 0x18000140
.long 0xD3D84041, 0x18000144
.long 0xD3D84042, 0x18000148
.long 0xD3D84043, 0x1800014C
.long 0xD3D84048, 0x18000141
.long 0xD3D84049, 0x18000145
.long 0xD3D8404A, 0x18000149
.long 0xD3D8404B, 0x1800014D
.long 0xD3D8404C, 0x18000142
.long 0xD3D8404D, 0x18000146
.long 0xD3D8404E, 0x1800014A
.long 0xD3D8404F, 0x1800014E
.long 0xD3D84054, 0x18000143
.long 0xD3D84055, 0x18000147
.long 0xD3D84056, 0x1800014B
.long 0xD3D84057, 0x1800014F
.long 0xBF800001
.long 0x0A28282C
	;; [unrolled: 1-line block ×42, first 2 shown]
.long 0xD0CC0030, 0x0001003E
.long 0xD1000010, 0x00C220F2
.long 0xD1000011, 0x00C222F2
.long 0xD3B14014, 0x18022910
.long 0xD0CC0030, 0x0001003E
.long 0xD1000012, 0x00C224F2
.long 0xD1000013, 0x00C226F2
.long 0xD3B14016, 0x18022D12
.long 0xD3B24004, 0x1802290C
.long 0xD3B24006, 0x18022D0E
.long 0xBEC41E3A
.long 0x7E280304
.long 0x7E2A0305
.long 0x7E2C0306
.long 0x7E2E0307
.long 0xE07C1000, 0x80041409
.long 0xD0CC0030, 0x0001003E
.long 0xD1000010, 0x00C220F2
.long 0xD1000011, 0x00C222F2
.long 0xD3B1401C, 0x18023910
.long 0xD0CC0030, 0x0001003E
.long 0xD1000012, 0x00C224F2
.long 0xD1000013, 0x00C226F2
.long 0xD3B1401E, 0x18023D12
.long 0xD3B24004, 0x1802390C
.long 0xD3B24006, 0x18023D0E
.long 0xBEC41E3A
.long 0x7E380304
.long 0x7E3A0305
.long 0x7E3C0306
.long 0x7E3E0307
.long 0xE07C1000, 0x80041C18
	;; [unrolled: 16-line block ×10, first 2 shown]
.long 0xBF800000
.long 0x7EA602FF, 0x80000000
.long 0xD1196A01, 0x00011B01
.long 0x92468D26
.long 0xD1340002, 0x00008D02
.long 0x92468D24
.long 0xD1340003, 0x00008D03
.long 0xD0C90046, 0x00003100
	;; [unrolled: 1-line block ×3, first 2 shown]
.long 0x86CA4A46
.long 0x924602FF, 0x00000100
.long 0xD135000A, 0x00008D00
.long 0x24141482
.long 0xD100000A, 0x012A1553
.long 0xD9FE0000, 0x0C00000A
	;; [unrolled: 3-line block ×3, first 2 shown]
.long 0xD1000009, 0x012A1353
.long 0xD1196A01, 0x00010301
.long 0xD1340002, 0x00004D02
.long 0xD1340003, 0x00004903
.long 0xD0C90046, 0x00003100
.long 0xD0C9004A, 0x00003301
.long 0x86CA4A46
.long 0x924602FF, 0x00000100
.long 0xD1350019, 0x00008D00
.long 0x24323282
.long 0xD1000019, 0x012A3353
.long 0x24340082
.long 0xD1FE0018, 0x020A0103
.long 0xD1000018, 0x012A3153
.long 0xD1196A01, 0x00010301
.long 0xD1340002, 0x00004D02
.long 0xD1340003, 0x00004903
.long 0xD0C90046, 0x00003100
.long 0xD0C9004A, 0x00003301
.long 0x86CA4A46
.long 0x924602FF, 0x00000100
.long 0xD1350020, 0x00008D00
.long 0x24404082
.long 0xD1000020, 0x012A4153
.long 0x24420082
.long 0xD1FE001B, 0x020A0103
	;; [unrolled: 13-line block ×3, first 2 shown]
.long 0xD1000022, 0x012A4553
.long 0xD1196A01, 0x00011B01
.long 0x92468D26
.long 0xD1340002, 0x00008D02
.long 0x92468D24
.long 0xD1340003, 0x00008D03
.long 0xD0C90046, 0x00003100
.long 0xD0C9004A, 0x00003301
.long 0x86CA4A46
.long 0x924602FF, 0x00000100
.long 0xD135002A, 0x00008D00
.long 0x24545482
.long 0xD100002A, 0x012A5553
.long 0x24560082
.long 0xD1FE0029, 0x020A0103
.long 0xD1000029, 0x012A5353
.long 0xD1196A01, 0x00010301
.long 0xD1340002, 0x00004D02
.long 0xD1340003, 0x00004903
.long 0xD0C90046, 0x00003100
.long 0xD0C9004A, 0x00003301
.long 0x86CA4A46
.long 0x924602FF, 0x00000100
.long 0xD1350035, 0x00008D00
.long 0x246A6A82
.long 0xD1000035, 0x012A6B53
.long 0x246C0082
.long 0xD1FE0034, 0x020A0103
.long 0xD1000034, 0x012A6953
.long 0xD1196A01, 0x00010301
.long 0xD1340002, 0x00004D02
	;; [unrolled: 13-line block ×3, first 2 shown]
.long 0xD1340003, 0x00004903
.long 0xD0C90046, 0x00003100
	;; [unrolled: 1-line block ×3, first 2 shown]
.long 0x86CA4A46
.long 0x924602FF, 0x00000100
.long 0xD135003F, 0x00008D00
.long 0x247E7E82
.long 0xD100003F, 0x012A7F53
.long 0x24880082
.long 0xD1FE003E, 0x020A0103
.long 0xD100003E, 0x012A7D53
	;; [unrolled: 1-line block ×3, first 2 shown]
.long 0x92468D26
.long 0xD1340002, 0x00008D02
.long 0x92468D24
.long 0xD1340003, 0x00008D03
.long 0xD0C90046, 0x00003100
	;; [unrolled: 1-line block ×3, first 2 shown]
.long 0x86CA4A46
.long 0x924602FF, 0x00000100
.long 0xD1350046, 0x00008D00
.long 0x248C8C82
.long 0xD1000046, 0x012A8D53
.long 0x248E0082
.long 0xD1FE0045, 0x020A0103
.long 0xD1000045, 0x012A8B53
	;; [unrolled: 1-line block ×7, first 2 shown]
.long 0x86CA4A46
.long 0x924602FF, 0x00000100
.long 0xD1350051, 0x00008D00
.long 0x24A2A282
.long 0xD1000051, 0x012AA353
.long 0x24A40082
.long 0xD1FE0050, 0x020A0103
.long 0xD1000050, 0x012AA153
	;; [unrolled: 1-line block ×42, first 2 shown]
.long 0xBF800001
.long 0x0A28282C
	;; [unrolled: 1-line block ×42, first 2 shown]
.long 0xD0CC0030, 0x0001003E
.long 0xD1000010, 0x00C220F2
.long 0xD1000011, 0x00C222F2
.long 0xD3B14014, 0x18022910
.long 0xD0CC0030, 0x0001003E
.long 0xD1000012, 0x00C224F2
.long 0xD1000013, 0x00C226F2
.long 0xD3B14016, 0x18022D12
.long 0xD3B24004, 0x1802290C
.long 0xD3B24006, 0x18022D0E
.long 0xBEC41E3A
.long 0x7E280304
.long 0x7E2A0305
.long 0x7E2C0306
.long 0x7E2E0307
.long 0xE07C1000, 0x80041409
.long 0xD0CC0030, 0x0001003E
.long 0xD1000010, 0x00C220F2
.long 0xD1000011, 0x00C222F2
.long 0xD3B1401C, 0x18023910
.long 0xD0CC0030, 0x0001003E
.long 0xD1000012, 0x00C224F2
.long 0xD1000013, 0x00C226F2
.long 0xD3B1401E, 0x18023D12
.long 0xD3B24004, 0x1802390C
.long 0xD3B24006, 0x18023D0E
.long 0xBEC41E3A
.long 0x7E380304
.long 0x7E3A0305
.long 0x7E3C0306
.long 0x7E3E0307
.long 0xE07C1000, 0x80041C18
	;; [unrolled: 16-line block ×10, first 2 shown]
.long 0xBF800000
.long 0x7EA602FF, 0x80000000
.long 0xD1196A01, 0x00010301
	;; [unrolled: 1-line block ×6, first 2 shown]
.long 0x86CA4A46
.long 0x924602FF, 0x00000100
.long 0xD135000A, 0x00008D00
.long 0x24141482
.long 0xD100000A, 0x012A1553
.long 0xD9FE0000, 0x0C00000A
	;; [unrolled: 3-line block ×3, first 2 shown]
.long 0xD1000009, 0x012A1353
.long 0xD1196A01, 0x00010301
	;; [unrolled: 1-line block ×6, first 2 shown]
.long 0x86CA4A46
.long 0x924602FF, 0x00000100
.long 0xD1350019, 0x00008D00
.long 0x24323282
.long 0xD1000019, 0x012A3353
.long 0x24340082
.long 0xD1FE0018, 0x020A0103
.long 0xD1000018, 0x012A3153
	;; [unrolled: 1-line block ×3, first 2 shown]
.long 0x92468D26
.long 0xD1340002, 0x00008D02
.long 0x92468D24
.long 0xD1340003, 0x00008D03
.long 0xD0C90046, 0x00003100
.long 0xD0C9004A, 0x00003301
.long 0x86CA4A46
.long 0x924602FF, 0x00000100
.long 0xD1350020, 0x00008D00
.long 0x24404082
.long 0xD1000020, 0x012A4153
.long 0x24420082
.long 0xD1FE001B, 0x020A0103
.long 0xD100001B, 0x012A3753
.long 0xD1196A01, 0x00010301
.long 0xD1340002, 0x00004D02
.long 0xD1340003, 0x00004903
.long 0xD0C90046, 0x00003100
.long 0xD0C9004A, 0x00003301
.long 0x86CA4A46
.long 0x924602FF, 0x00000100
.long 0xD1350023, 0x00008D00
.long 0x24464682
.long 0xD1000023, 0x012A4753
.long 0x24500082
.long 0xD1FE0022, 0x020A0103
.long 0xD1000022, 0x012A4553
.long 0xD1196A01, 0x00010301
.long 0xD1340002, 0x00004D02
	;; [unrolled: 13-line block ×3, first 2 shown]
.long 0xD1340003, 0x00004903
.long 0xD0C90046, 0x00003100
.long 0xD0C9004A, 0x00003301
.long 0x86CA4A46
.long 0x924602FF, 0x00000100
.long 0xD1350035, 0x00008D00
.long 0x246A6A82
.long 0xD1000035, 0x012A6B53
.long 0x246C0082
.long 0xD1FE0034, 0x020A0103
.long 0xD1000034, 0x012A6953
	;; [unrolled: 1-line block ×3, first 2 shown]
.long 0x92468D26
.long 0xD1340002, 0x00008D02
.long 0x92468D24
.long 0xD1340003, 0x00008D03
.long 0xD0C90046, 0x00003100
.long 0xD0C9004A, 0x00003301
.long 0x86CA4A46
.long 0x924602FF, 0x00000100
.long 0xD135003C, 0x00008D00
.long 0x24787882
.long 0xD100003C, 0x012A7953
.long 0x247A0082
.long 0xD1FE0037, 0x020A0103
.long 0xD1000037, 0x012A6F53
.long 0xD1196A01, 0x00010301
.long 0xD1340002, 0x00004D02
.long 0xD1340003, 0x00004903
.long 0xD0C90046, 0x00003100
.long 0xD0C9004A, 0x00003301
.long 0x86CA4A46
.long 0x924602FF, 0x00000100
.long 0xD135003F, 0x00008D00
.long 0x247E7E82
.long 0xD100003F, 0x012A7F53
.long 0x24880082
.long 0xD1FE003E, 0x020A0103
.long 0xD100003E, 0x012A7D53
.long 0xD1196A01, 0x00010301
.long 0xD1340002, 0x00004D02
	;; [unrolled: 13-line block ×4, first 2 shown]
.long 0xD3D84016, 0x1800017A
.long 0xD3D84017, 0x1800017E
	;; [unrolled: 1-line block ×38, first 2 shown]
.long 0xBF800001
.long 0x0A28282C
	;; [unrolled: 1-line block ×42, first 2 shown]
.long 0xD0CC0030, 0x0001003E
.long 0xD1000010, 0x00C220F2
.long 0xD1000011, 0x00C222F2
.long 0xD3B14014, 0x18022910
.long 0xD0CC0030, 0x0001003E
.long 0xD1000012, 0x00C224F2
.long 0xD1000013, 0x00C226F2
.long 0xD3B14016, 0x18022D12
.long 0xD3B24004, 0x1802290C
.long 0xD3B24006, 0x18022D0E
.long 0xBEC41E3A
.long 0x7E280304
.long 0x7E2A0305
.long 0x7E2C0306
.long 0x7E2E0307
.long 0xE07C1000, 0x80041409
.long 0xD0CC0030, 0x0001003E
.long 0xD1000010, 0x00C220F2
.long 0xD1000011, 0x00C222F2
.long 0xD3B1401C, 0x18023910
.long 0xD0CC0030, 0x0001003E
.long 0xD1000012, 0x00C224F2
.long 0xD1000013, 0x00C226F2
.long 0xD3B1401E, 0x18023D12
.long 0xD3B24004, 0x1802390C
.long 0xD3B24006, 0x18023D0E
.long 0xBEC41E3A
.long 0x7E380304
.long 0x7E3A0305
.long 0x7E3C0306
.long 0x7E3E0307
.long 0xE07C1000, 0x80041C18
	;; [unrolled: 16-line block ×10, first 2 shown]
.long 0xBF800000
.long 0x7EA602FF, 0x80000000
.long 0xD1196A01, 0x00011B01
.long 0x92468D26
.long 0xD1340002, 0x00008D02
.long 0x92468D24
.long 0xD1340003, 0x00008D03
.long 0xD0C90046, 0x00003100
.long 0xD0C9004A, 0x00003301
.long 0x86CA4A46
.long 0x924602FF, 0x00000100
.long 0xD135000A, 0x00008D00
.long 0x24141482
.long 0xD100000A, 0x012A1553
.long 0xD9FE0000, 0x0C00000A
	;; [unrolled: 3-line block ×3, first 2 shown]
.long 0xD1000009, 0x012A1353
.long 0xD1196A01, 0x00010301
.long 0xD1340002, 0x00004D02
.long 0xD1340003, 0x00004903
.long 0xD0C90046, 0x00003100
.long 0xD0C9004A, 0x00003301
.long 0x86CA4A46
.long 0x924602FF, 0x00000100
.long 0xD1350019, 0x00008D00
.long 0x24323282
.long 0xD1000019, 0x012A3353
.long 0x24340082
.long 0xD1FE0018, 0x020A0103
.long 0xD1000018, 0x012A3153
.long 0xD1196A01, 0x00010301
.long 0xD1340002, 0x00004D02
.long 0xD1340003, 0x00004903
.long 0xD0C90046, 0x00003100
.long 0xD0C9004A, 0x00003301
.long 0x86CA4A46
.long 0x924602FF, 0x00000100
.long 0xD1350020, 0x00008D00
.long 0x24404082
.long 0xD1000020, 0x012A4153
.long 0x24420082
.long 0xD1FE001B, 0x020A0103
	;; [unrolled: 13-line block ×3, first 2 shown]
.long 0xD1000022, 0x012A4553
.long 0xD1196A01, 0x00011B01
.long 0x92468D26
.long 0xD1340002, 0x00008D02
.long 0x92468D24
.long 0xD1340003, 0x00008D03
.long 0xD0C90046, 0x00003100
.long 0xD0C9004A, 0x00003301
.long 0x86CA4A46
.long 0x924602FF, 0x00000100
.long 0xD135002A, 0x00008D00
.long 0x24545482
.long 0xD100002A, 0x012A5553
.long 0x24560082
.long 0xD1FE0029, 0x020A0103
.long 0xD1000029, 0x012A5353
.long 0xD1196A01, 0x00010301
.long 0xD1340002, 0x00004D02
.long 0xD1340003, 0x00004903
.long 0xD0C90046, 0x00003100
.long 0xD0C9004A, 0x00003301
.long 0x86CA4A46
.long 0x924602FF, 0x00000100
.long 0xD1350035, 0x00008D00
.long 0x246A6A82
.long 0xD1000035, 0x012A6B53
.long 0x246C0082
.long 0xD1FE0034, 0x020A0103
.long 0xD1000034, 0x012A6953
.long 0xD1196A01, 0x00010301
.long 0xD1340002, 0x00004D02
	;; [unrolled: 13-line block ×3, first 2 shown]
.long 0xD1340003, 0x00004903
.long 0xD0C90046, 0x00003100
	;; [unrolled: 1-line block ×3, first 2 shown]
.long 0x86CA4A46
.long 0x924602FF, 0x00000100
.long 0xD135003F, 0x00008D00
.long 0x247E7E82
.long 0xD100003F, 0x012A7F53
.long 0x24880082
.long 0xD1FE003E, 0x020A0103
.long 0xD100003E, 0x012A7D53
	;; [unrolled: 1-line block ×3, first 2 shown]
.long 0x92468D26
.long 0xD1340002, 0x00008D02
.long 0x92468D24
.long 0xD1340003, 0x00008D03
.long 0xD0C90046, 0x00003100
	;; [unrolled: 1-line block ×3, first 2 shown]
.long 0x86CA4A46
.long 0x924602FF, 0x00000100
.long 0xD1350046, 0x00008D00
.long 0x248C8C82
.long 0xD1000046, 0x012A8D53
.long 0x248E0082
.long 0xD1FE0045, 0x020A0103
.long 0xD1000045, 0x012A8B53
	;; [unrolled: 1-line block ×7, first 2 shown]
.long 0x86CA4A46
.long 0x924602FF, 0x00000100
.long 0xD1350051, 0x00008D00
.long 0x24A2A282
.long 0xD1000051, 0x012AA353
.long 0x24A40082
.long 0xD1FE0050, 0x020A0103
.long 0xD1000050, 0x012AA153
	;; [unrolled: 1-line block ×42, first 2 shown]
.long 0xBF800001
.long 0x0A28282C
	;; [unrolled: 1-line block ×42, first 2 shown]
.long 0xD0CC0030, 0x0001003E
.long 0xD1000010, 0x00C220F2
.long 0xD1000011, 0x00C222F2
.long 0xD3B14014, 0x18022910
.long 0xD0CC0030, 0x0001003E
.long 0xD1000012, 0x00C224F2
.long 0xD1000013, 0x00C226F2
.long 0xD3B14016, 0x18022D12
.long 0xD3B24004, 0x1802290C
.long 0xD3B24006, 0x18022D0E
.long 0xBEC41E3A
.long 0x7E280304
.long 0x7E2A0305
.long 0x7E2C0306
.long 0x7E2E0307
.long 0xE07C1000, 0x80041409
.long 0xD0CC0030, 0x0001003E
.long 0xD1000010, 0x00C220F2
.long 0xD1000011, 0x00C222F2
.long 0xD3B1401C, 0x18023910
.long 0xD0CC0030, 0x0001003E
.long 0xD1000012, 0x00C224F2
.long 0xD1000013, 0x00C226F2
.long 0xD3B1401E, 0x18023D12
.long 0xD3B24004, 0x1802390C
.long 0xD3B24006, 0x18023D0E
.long 0xBEC41E3A
.long 0x7E380304
.long 0x7E3A0305
.long 0x7E3C0306
.long 0x7E3E0307
.long 0xE07C1000, 0x80041C18
	;; [unrolled: 16-line block ×10, first 2 shown]
.long 0xBF800000
.long 0x7EA602FF, 0x80000000
.long 0xD1196A01, 0x00010301
	;; [unrolled: 1-line block ×6, first 2 shown]
.long 0x86CA4A46
.long 0x924602FF, 0x00000100
.long 0xD135000A, 0x00008D00
.long 0x24141482
.long 0xD100000A, 0x012A1553
.long 0xD9FE0000, 0x0C00000A
	;; [unrolled: 3-line block ×3, first 2 shown]
.long 0xD1000009, 0x012A1353
.long 0xD1196A01, 0x00010301
	;; [unrolled: 1-line block ×6, first 2 shown]
.long 0x86CA4A46
.long 0x924602FF, 0x00000100
.long 0xD1350019, 0x00008D00
.long 0x24323282
.long 0xD1000019, 0x012A3353
.long 0x24340082
.long 0xD1FE0018, 0x020A0103
.long 0xD1000018, 0x012A3153
	;; [unrolled: 1-line block ×3, first 2 shown]
.long 0x92468D26
.long 0xD1340002, 0x00008D02
.long 0x92468D24
.long 0xD1340003, 0x00008D03
.long 0xD0C90046, 0x00003100
.long 0xD0C9004A, 0x00003301
.long 0x86CA4A46
.long 0x924602FF, 0x00000100
.long 0xD1350020, 0x00008D00
.long 0x24404082
.long 0xD1000020, 0x012A4153
.long 0x24420082
.long 0xD1FE001B, 0x020A0103
.long 0xD100001B, 0x012A3753
.long 0xD1196A01, 0x00010301
.long 0xD1340002, 0x00004D02
.long 0xD1340003, 0x00004903
.long 0xD0C90046, 0x00003100
.long 0xD0C9004A, 0x00003301
.long 0x86CA4A46
.long 0x924602FF, 0x00000100
.long 0xD1350023, 0x00008D00
.long 0x24464682
.long 0xD1000023, 0x012A4753
.long 0x24500082
.long 0xD1FE0022, 0x020A0103
.long 0xD1000022, 0x012A4553
.long 0xD1196A01, 0x00010301
.long 0xD1340002, 0x00004D02
	;; [unrolled: 13-line block ×3, first 2 shown]
.long 0xD1340003, 0x00004903
.long 0xD0C90046, 0x00003100
	;; [unrolled: 1-line block ×3, first 2 shown]
.long 0x86CA4A46
.long 0x924602FF, 0x00000100
.long 0xD1350035, 0x00008D00
.long 0x246A6A82
.long 0xD1000035, 0x012A6B53
.long 0x246C0082
.long 0xD1FE0034, 0x020A0103
.long 0xD1000034, 0x012A6953
	;; [unrolled: 1-line block ×3, first 2 shown]
.long 0x92468D26
.long 0xD1340002, 0x00008D02
.long 0x92468D24
.long 0xD1340003, 0x00008D03
.long 0xD0C90046, 0x00003100
.long 0xD0C9004A, 0x00003301
.long 0x86CA4A46
.long 0x924602FF, 0x00000100
.long 0xD135003C, 0x00008D00
.long 0x24787882
.long 0xD100003C, 0x012A7953
.long 0x247A0082
.long 0xD1FE0037, 0x020A0103
.long 0xD1000037, 0x012A6F53
.long 0xD1196A01, 0x00010301
.long 0xD1340002, 0x00004D02
.long 0xD1340003, 0x00004903
.long 0xD0C90046, 0x00003100
.long 0xD0C9004A, 0x00003301
.long 0x86CA4A46
.long 0x924602FF, 0x00000100
.long 0xD135003F, 0x00008D00
.long 0x247E7E82
.long 0xD100003F, 0x012A7F53
.long 0x24880082
.long 0xD1FE003E, 0x020A0103
.long 0xD100003E, 0x012A7D53
.long 0xD1196A01, 0x00010301
.long 0xD1340002, 0x00004D02
	;; [unrolled: 13-line block ×4, first 2 shown]
.long 0xD3D84016, 0x180001CA
.long 0xD3D84017, 0x180001CE
	;; [unrolled: 1-line block ×38, first 2 shown]
.long 0xBF800001
.long 0x0A28282C
	;; [unrolled: 1-line block ×42, first 2 shown]
.long 0xD0CC0030, 0x0001003E
.long 0xD1000010, 0x00C220F2
.long 0xD1000011, 0x00C222F2
.long 0xD3B14014, 0x18022910
.long 0xD0CC0030, 0x0001003E
.long 0xD1000012, 0x00C224F2
.long 0xD1000013, 0x00C226F2
.long 0xD3B14016, 0x18022D12
.long 0xD3B24004, 0x1802290C
.long 0xD3B24006, 0x18022D0E
.long 0xBEC41E3A
.long 0x7E280304
.long 0x7E2A0305
.long 0x7E2C0306
.long 0x7E2E0307
.long 0xE07C1000, 0x80041409
.long 0xD0CC0030, 0x0001003E
.long 0xD1000010, 0x00C220F2
.long 0xD1000011, 0x00C222F2
.long 0xD3B1401C, 0x18023910
.long 0xD0CC0030, 0x0001003E
.long 0xD1000012, 0x00C224F2
.long 0xD1000013, 0x00C226F2
.long 0xD3B1401E, 0x18023D12
.long 0xD3B24004, 0x1802390C
.long 0xD3B24006, 0x18023D0E
.long 0xBEC41E3A
.long 0x7E380304
.long 0x7E3A0305
.long 0x7E3C0306
.long 0x7E3E0307
.long 0xE07C1000, 0x80041C18
	;; [unrolled: 16-line block ×10, first 2 shown]
.long 0xBF800000
.long 0x7EA602FF, 0x80000000
.long 0xD1196A01, 0x00011B01
.long 0x92468D26
.long 0xD1340002, 0x00008D02
.long 0x92468D24
.long 0xD1340003, 0x00008D03
.long 0xD0C90046, 0x00003100
	;; [unrolled: 1-line block ×3, first 2 shown]
.long 0x86CA4A46
.long 0x924602FF, 0x00000100
.long 0xD135000A, 0x00008D00
.long 0x24141482
.long 0xD100000A, 0x012A1553
.long 0xD9FE0000, 0x0C00000A
	;; [unrolled: 3-line block ×3, first 2 shown]
.long 0xD1000009, 0x012A1353
.long 0xD1196A01, 0x00010301
.long 0xD1340002, 0x00004D02
.long 0xD1340003, 0x00004903
.long 0xD0C90046, 0x00003100
.long 0xD0C9004A, 0x00003301
.long 0x86CA4A46
.long 0x924602FF, 0x00000100
.long 0xD1350019, 0x00008D00
.long 0x24323282
.long 0xD1000019, 0x012A3353
.long 0x24340082
.long 0xD1FE0018, 0x020A0103
.long 0xD1000018, 0x012A3153
.long 0xD1196A01, 0x00010301
.long 0xD1340002, 0x00004D02
.long 0xD1340003, 0x00004903
.long 0xD0C90046, 0x00003100
.long 0xD0C9004A, 0x00003301
.long 0x86CA4A46
.long 0x924602FF, 0x00000100
.long 0xD1350020, 0x00008D00
.long 0x24404082
.long 0xD1000020, 0x012A4153
.long 0x24420082
.long 0xD1FE001B, 0x020A0103
	;; [unrolled: 13-line block ×3, first 2 shown]
.long 0xD1000022, 0x012A4553
.long 0xD1196A01, 0x00011B01
.long 0x92468D26
.long 0xD1340002, 0x00008D02
.long 0x92468D24
.long 0xD1340003, 0x00008D03
.long 0xD0C90046, 0x00003100
.long 0xD0C9004A, 0x00003301
.long 0x86CA4A46
.long 0x924602FF, 0x00000100
.long 0xD135002A, 0x00008D00
.long 0x24545482
.long 0xD100002A, 0x012A5553
.long 0x24560082
.long 0xD1FE0029, 0x020A0103
.long 0xD1000029, 0x012A5353
.long 0xD1196A01, 0x00010301
.long 0xD1340002, 0x00004D02
.long 0xD1340003, 0x00004903
.long 0xD0C90046, 0x00003100
.long 0xD0C9004A, 0x00003301
.long 0x86CA4A46
.long 0x924602FF, 0x00000100
.long 0xD1350035, 0x00008D00
.long 0x246A6A82
.long 0xD1000035, 0x012A6B53
.long 0x246C0082
.long 0xD1FE0034, 0x020A0103
.long 0xD1000034, 0x012A6953
.long 0xD1196A01, 0x00010301
.long 0xD1340002, 0x00004D02
.long 0xD1340003, 0x00004903
.long 0xD0C90046, 0x00003100
.long 0xD0C9004A, 0x00003301
.long 0x86CA4A46
.long 0x924602FF, 0x00000100
.long 0xD135003C, 0x00008D00
.long 0x24787882
.long 0xD100003C, 0x012A7953
.long 0x247A0082
.long 0xD1FE0037, 0x020A0103
.long 0xD1000037, 0x012A6F53
.long 0xD1196A01, 0x00010301
.long 0xD1340002, 0x00004D02
.long 0xD1340003, 0x00004903
.long 0xD0C90046, 0x00003100
	;; [unrolled: 1-line block ×3, first 2 shown]
.long 0x86CA4A46
.long 0x924602FF, 0x00000100
.long 0xD135003F, 0x00008D00
.long 0x247E7E82
.long 0xD100003F, 0x012A7F53
.long 0x24880082
.long 0xD1FE003E, 0x020A0103
.long 0xD100003E, 0x012A7D53
	;; [unrolled: 1-line block ×3, first 2 shown]
.long 0x92468D26
.long 0xD1340002, 0x00008D02
.long 0x92468D24
.long 0xD1340003, 0x00008D03
.long 0xD0C90046, 0x00003100
	;; [unrolled: 1-line block ×3, first 2 shown]
.long 0x86CA4A46
.long 0x924602FF, 0x00000100
.long 0xD1350046, 0x00008D00
.long 0x248C8C82
.long 0xD1000046, 0x012A8D53
.long 0x248E0082
.long 0xD1FE0045, 0x020A0103
.long 0xD1000045, 0x012A8B53
	;; [unrolled: 1-line block ×7, first 2 shown]
.long 0x86CA4A46
.long 0x924602FF, 0x00000100
.long 0xD1350051, 0x00008D00
.long 0x24A2A282
.long 0xD1000051, 0x012AA353
.long 0x24A40082
.long 0xD1FE0050, 0x020A0103
.long 0xD1000050, 0x012AA153
	;; [unrolled: 1-line block ×18, first 2 shown]
.long 0x7E6003C0
.long 0x7E6203C4
	;; [unrolled: 1-line block ×66, first 2 shown]
.long 0xD0CC0030, 0x0001003E
.long 0xD1000010, 0x00C220F2
.long 0xD1000011, 0x00C222F2
.long 0xD3B14014, 0x18022910
.long 0xD0CC0030, 0x0001003E
.long 0xD1000012, 0x00C224F2
.long 0xD1000013, 0x00C226F2
.long 0xD3B14016, 0x18022D12
.long 0xD3B24004, 0x1802290C
.long 0xD3B24006, 0x18022D0E
.long 0xBEC41E3A
.long 0x7E280304
.long 0x7E2A0305
.long 0x7E2C0306
.long 0x7E2E0307
.long 0xE07C1000, 0x80041409
.long 0xD0CC0030, 0x0001003E
.long 0xD1000010, 0x00C220F2
.long 0xD1000011, 0x00C222F2
.long 0xD3B1401C, 0x18023910
.long 0xD0CC0030, 0x0001003E
.long 0xD1000012, 0x00C224F2
.long 0xD1000013, 0x00C226F2
.long 0xD3B1401E, 0x18023D12
.long 0xD3B24004, 0x1802390C
.long 0xD3B24006, 0x18023D0E
.long 0xBEC41E3A
.long 0x7E380304
.long 0x7E3A0305
.long 0x7E3C0306
.long 0x7E3E0307
.long 0xE07C1000, 0x80041C18
	;; [unrolled: 16-line block ×10, first 2 shown]
.long 0xBF800000
.long 0x7EA602FF, 0x80000000
.long 0xD1196A01, 0x00010301
.long 0xD1340002, 0x00004D02
.long 0xD1340003, 0x00004903
.long 0xD0C90046, 0x00003100
.long 0xD0C9004A, 0x00003301
.long 0x86CA4A46
.long 0x924602FF, 0x00000100
.long 0xD135000A, 0x00008D00
.long 0x24141482
.long 0xD100000A, 0x012A1553
.long 0xD9FE0000, 0x0C00000A
	;; [unrolled: 3-line block ×3, first 2 shown]
.long 0xD1000009, 0x012A1353
.long 0xD1196A01, 0x00010301
	;; [unrolled: 1-line block ×6, first 2 shown]
.long 0x86CA4A46
.long 0x924602FF, 0x00000100
.long 0xD1350019, 0x00008D00
.long 0x24323282
.long 0xD1000019, 0x012A3353
.long 0x24340082
.long 0xD1FE0018, 0x020A0103
.long 0xD1000018, 0x012A3153
	;; [unrolled: 1-line block ×3, first 2 shown]
.long 0x92468D26
.long 0xD1340002, 0x00008D02
.long 0x92468D24
.long 0xD1340003, 0x00008D03
.long 0xD0C90046, 0x00003100
.long 0xD0C9004A, 0x00003301
.long 0x86CA4A46
.long 0x924602FF, 0x00000100
.long 0xD1350020, 0x00008D00
.long 0x24404082
.long 0xD1000020, 0x012A4153
.long 0x24420082
.long 0xD1FE001B, 0x020A0103
.long 0xD100001B, 0x012A3753
.long 0xD1196A01, 0x00010301
.long 0xD1340002, 0x00004D02
.long 0xD1340003, 0x00004903
.long 0xD0C90046, 0x00003100
.long 0xD0C9004A, 0x00003301
.long 0x86CA4A46
.long 0x924602FF, 0x00000100
.long 0xD1350023, 0x00008D00
.long 0x24464682
.long 0xD1000023, 0x012A4753
.long 0x24500082
.long 0xD1FE0022, 0x020A0103
.long 0xD1000022, 0x012A4553
.long 0xD1196A01, 0x00010301
.long 0xD1340002, 0x00004D02
	;; [unrolled: 13-line block ×3, first 2 shown]
.long 0xD1340003, 0x00004903
.long 0xD0C90046, 0x00003100
.long 0xD0C9004A, 0x00003301
.long 0x86CA4A46
.long 0x924602FF, 0x00000100
.long 0xD1350035, 0x00008D00
.long 0x246A6A82
.long 0xD1000035, 0x012A6B53
.long 0x246C0082
.long 0xD1FE0034, 0x020A0103
.long 0xD1000034, 0x012A6953
	;; [unrolled: 1-line block ×3, first 2 shown]
.long 0x92468D26
.long 0xD1340002, 0x00008D02
.long 0x92468D24
.long 0xD1340003, 0x00008D03
.long 0xD0C90046, 0x00003100
.long 0xD0C9004A, 0x00003301
.long 0x86CA4A46
.long 0x924602FF, 0x00000100
.long 0xD135003C, 0x00008D00
.long 0x24787882
.long 0xD100003C, 0x012A7953
.long 0x247A0082
.long 0xD1FE0037, 0x020A0103
.long 0xD1000037, 0x012A6F53
.long 0xD1196A01, 0x00010301
.long 0xD1340002, 0x00004D02
.long 0xD1340003, 0x00004903
.long 0xD0C90046, 0x00003100
.long 0xD0C9004A, 0x00003301
.long 0x86CA4A46
.long 0x924602FF, 0x00000100
.long 0xD135003F, 0x00008D00
.long 0x247E7E82
.long 0xD100003F, 0x012A7F53
.long 0x24880082
.long 0xD1FE003E, 0x020A0103
.long 0xD100003E, 0x012A7D53
.long 0xD1196A01, 0x00010301
.long 0xD1340002, 0x00004D02
	;; [unrolled: 13-line block ×3, first 2 shown]
.long 0xD1340003, 0x00004903
.long 0xD0C90046, 0x00003100
	;; [unrolled: 1-line block ×3, first 2 shown]
.long 0x86CA4A46
.long 0x924602FF, 0x00000100
.long 0xD1350051, 0x00008D00
.long 0x24A2A282
.long 0xD1000051, 0x012AA353
.long 0x24A40082
.long 0xD1FE0050, 0x020A0103
.long 0xD1000050, 0x012AA153
.long 0x7E2803D2
.long 0x7E2A03D6
	;; [unrolled: 1-line block ×82, first 2 shown]
.long 0xD0CC0030, 0x0001003E
.long 0xD1000010, 0x00C220F2
.long 0xD1000011, 0x00C222F2
.long 0xD3B14014, 0x18022910
.long 0xD0CC0030, 0x0001003E
.long 0xD1000012, 0x00C224F2
.long 0xD1000013, 0x00C226F2
.long 0xD3B14016, 0x18022D12
.long 0xD3B24004, 0x1802290C
.long 0xD3B24006, 0x18022D0E
.long 0xBEC41E3A
.long 0x7E280304
.long 0x7E2A0305
.long 0x7E2C0306
.long 0x7E2E0307
.long 0xE07C1000, 0x80041409
.long 0xD0CC0030, 0x0001003E
.long 0xD1000010, 0x00C220F2
.long 0xD1000011, 0x00C222F2
.long 0xD3B1401C, 0x18023910
.long 0xD0CC0030, 0x0001003E
.long 0xD1000012, 0x00C224F2
.long 0xD1000013, 0x00C226F2
.long 0xD3B1401E, 0x18023D12
.long 0xD3B24004, 0x1802390C
.long 0xD3B24006, 0x18023D0E
.long 0xBEC41E3A
.long 0x7E380304
.long 0x7E3A0305
.long 0x7E3C0306
.long 0x7E3E0307
.long 0xE07C1000, 0x80041C18
.long 0xD0CC0030, 0x0001003E
.long 0xD1000010, 0x00C220F2
.long 0xD1000011, 0x00C222F2
.long 0xD3B14024, 0x18024910
.long 0xD0CC0030, 0x0001003E
.long 0xD1000012, 0x00C224F2
.long 0xD1000013, 0x00C226F2
.long 0xD3B14026, 0x18024D12
.long 0xD3B24004, 0x1802490C
.long 0xD3B24006, 0x18024D0E
.long 0xBEC41E3A
.long 0x7E480304
.long 0x7E4A0305
.long 0x7E4C0306
.long 0x7E4E0307
.long 0xE07C1000, 0x8004241B
.long 0xD0CC0030, 0x0001003E
.long 0xD1000010, 0x00C220F2
.long 0xD1000011, 0x00C222F2
.long 0xD3B1402C, 0x18025910
.long 0xD0CC0030, 0x0001003E
.long 0xD1000012, 0x00C224F2
.long 0xD1000013, 0x00C226F2
.long 0xD3B1402E, 0x18025D12
.long 0xD3B24004, 0x1802590C
.long 0xD3B24006, 0x18025D0E
.long 0xBEC41E3A
.long 0x7E580304
.long 0x7E5A0305
.long 0x7E5C0306
.long 0x7E5E0307
.long 0xE07C1000, 0x80042C22
.long 0xD0CC0030, 0x0001003E
.long 0xD1000010, 0x00C220F2
.long 0xD1000011, 0x00C222F2
.long 0xD3B14030, 0x18026110
.long 0xD0CC0030, 0x0001003E
.long 0xD1000012, 0x00C224F2
.long 0xD1000013, 0x00C226F2
.long 0xD3B14032, 0x18026512
.long 0xD3B24004, 0x1802610C
.long 0xD3B24006, 0x1802650E
.long 0xBEC41E3A
.long 0x7E600304
.long 0x7E620305
.long 0x7E640306
.long 0x7E660307
.long 0xE07C1000, 0x80043029
.long 0xD0CC0030, 0x0001003E
.long 0xD1000010, 0x00C220F2
.long 0xD1000011, 0x00C222F2
.long 0xD3B14038, 0x18027110
.long 0xD0CC0030, 0x0001003E
.long 0xD1000012, 0x00C224F2
.long 0xD1000013, 0x00C226F2
.long 0xD3B1403A, 0x18027512
.long 0xD3B24004, 0x1802710C
.long 0xD3B24006, 0x1802750E
.long 0xBEC41E3A
.long 0x7E700304
.long 0x7E720305
.long 0x7E740306
.long 0x7E760307
.long 0xE07C1000, 0x80043834
.long 0xD0CC0030, 0x0001003E
.long 0xD1000010, 0x00C220F2
.long 0xD1000011, 0x00C222F2
.long 0xD3B14040, 0x18028110
.long 0xD0CC0030, 0x0001003E
.long 0xD1000012, 0x00C224F2
.long 0xD1000013, 0x00C226F2
.long 0xD3B14042, 0x18028512
.long 0xD3B24004, 0x1802810C
.long 0xD3B24006, 0x1802850E
.long 0xBEC41E3A
.long 0x7E800304
.long 0x7E820305
.long 0x7E840306
.long 0x7E860307
.long 0xE07C1000, 0x80044037
.long 0xD0CC0030, 0x0001003E
.long 0xD1000010, 0x00C220F2
.long 0xD1000011, 0x00C222F2
.long 0xD3B14048, 0x18029110
.long 0xD0CC0030, 0x0001003E
.long 0xD1000012, 0x00C224F2
.long 0xD1000013, 0x00C226F2
.long 0xD3B1404A, 0x18029512
.long 0xD3B24004, 0x1802910C
.long 0xD3B24006, 0x1802950E
.long 0xBEC41E3A
.long 0x7E900304
.long 0x7E920305
.long 0x7E940306
.long 0x7E960307
.long 0xE07C1000, 0x8004483E
.long 0xD0CC0030, 0x0001003E
.long 0xD1000010, 0x00C220F2
.long 0xD1000011, 0x00C222F2
.long 0xD3B1404C, 0x18029910
.long 0xD0CC0030, 0x0001003E
.long 0xD1000012, 0x00C224F2
.long 0xD1000013, 0x00C226F2
.long 0xD3B1404E, 0x18029D12
.long 0xD3B24004, 0x1802990C
.long 0xD3B24006, 0x18029D0E
.long 0xBEC41E3A
.long 0x7E980304
.long 0x7E9A0305
.long 0x7E9C0306
.long 0x7E9E0307
.long 0xE07C1000, 0x80044C45
.long 0xD0CC0030, 0x0001003E
.long 0xD1000010, 0x00C220F2
.long 0xD1000011, 0x00C222F2
.long 0xD3B14054, 0x1802A910
.long 0xD0CC0030, 0x0001003E
.long 0xD1000012, 0x00C224F2
.long 0xD1000013, 0x00C226F2
.long 0xD3B14056, 0x1802AD12
.long 0xD3B24004, 0x1802A90C
.long 0xD3B24006, 0x1802AD0E
.long 0xBEC41E3A
.long 0x7EA80304
.long 0x7EAA0305
.long 0x7EAC0306
.long 0x7EAE0307
.long 0xE07C1000, 0x80045450
.long 0xBF800000
.long 0xBF8229B0
.long 0x864618FF, 0x000000FF
.long 0x80470DC1
.long 0xBF094702
	;; [unrolled: 1-line block ×6, first 2 shown]
.long 0x924819FF, 0x00000199
.long 0x8EC89048
.long 0x9247FF19, 0x0000999A
.long 0x80484847
.long 0x82498049
	;; [unrolled: 1-line block ×4, first 2 shown]
.long 0x9248FF47, 0x00000140
.long 0x80C64819
.long 0x80470EC1
	;; [unrolled: 1-line block ×6, first 2 shown]
.long 0xD1FE000A, 0x020A0102
.long 0xE05C1000, 0x8005100A
	;; [unrolled: 1-line block ×4, first 2 shown]
.long 0x24161682
.long 0xBF8CC07F
	;; [unrolled: 1-line block ×3, first 2 shown]
.long 0xD9FE0000, 0x1400000B
.long 0x24180082
.long 0xE05C1000, 0x800F180C
.long 0x8E468226
.long 0x80144614
.long 0x82158015
.long 0xE05C1000, 0x8005200A
.long 0x8E468226
.long 0x80144614
	;; [unrolled: 4-line block ×9, first 2 shown]
.long 0x82158015
.long 0xE05C1000, 0x8005600A
.long 0xD1FE0009, 0x020A0103
.long 0xD3D8401C, 0x18000100
.long 0xD3D8401D, 0x18000104
.long 0xD3D8401E, 0x18000108
.long 0xD3D8401F, 0x1800010C
.long 0xD3D84024, 0x18000101
.long 0xD3D84025, 0x18000105
.long 0xD3D84026, 0x18000109
.long 0xD3D84027, 0x1800010D
.long 0xD3D8402C, 0x18000102
.long 0xD3D8402D, 0x18000106
.long 0xD3D8402E, 0x1800010A
.long 0xD3D8402F, 0x1800010E
.long 0xD3D84034, 0x18000103
.long 0xD3D84035, 0x18000107
.long 0xD3D84036, 0x1800010B
.long 0xD3D84037, 0x1800010F
.long 0xD3D8403C, 0x18000110
.long 0xD3D8403D, 0x18000114
.long 0xD3D8403E, 0x18000118
.long 0xD3D8403F, 0x1800011C
.long 0xD3D84044, 0x18000111
.long 0xD3D84045, 0x18000115
.long 0xD3D84046, 0x18000119
.long 0xD3D84047, 0x1800011D
.long 0xD3D8404C, 0x18000112
.long 0xD3D8404D, 0x18000116
.long 0xD3D8404E, 0x1800011A
.long 0xD3D8404F, 0x1800011E
.long 0xD3D84054, 0x18000113
.long 0xD3D84055, 0x18000117
.long 0xD3D84056, 0x1800011B
.long 0xD3D84057, 0x1800011F
.long 0xD3D8405C, 0x18000120
.long 0xD3D8405D, 0x18000124
.long 0xD3D8405E, 0x18000128
.long 0xD3D8405F, 0x1800012C
.long 0xD3D84064, 0x18000121
.long 0xD3D84065, 0x18000125
.long 0xD3D84066, 0x18000129
.long 0xD3D84067, 0x1800012D
.long 0xBF800001
.long 0x0A38382C
	;; [unrolled: 1-line block ×42, first 2 shown]
.long 0xD0CC0030, 0x0001003E
.long 0xD1000018, 0x00C230F2
	;; [unrolled: 1-line block ×14, first 2 shown]
.long 0xBEC41E3A
.long 0x7E380304
.long 0x7E3A0305
.long 0x7E3C0306
.long 0x7E3E0307
.long 0xE07C1000, 0x80041C09
.long 0xBF8C0F79
.long 0xD0CC0030, 0x0001003E
.long 0xD1000018, 0x00C230F2
.long 0xD1000019, 0x00C232F2
.long 0xD3B14024, 0x18024918
.long 0xD0CC0030, 0x0001003E
.long 0xD100001A, 0x00C234F2
.long 0xD100001B, 0x00C236F2
.long 0xD3B14026, 0x18024D1A
.long 0xD13B0024, 0x00005B20
.long 0xD13B0025, 0x00005B21
.long 0xD13B0026, 0x00005B22
.long 0xD13B0027, 0x00005B23
.long 0xD3B24004, 0x18024914
.long 0xD3B24006, 0x18024D16
.long 0xBEC41E3A
.long 0x7E480304
.long 0x7E4A0305
.long 0x7E4C0306
.long 0x7E4E0307
.long 0x8E468224
.long 0x80104610
.long 0x82118011
.long 0xE07C1000, 0x80042409
.long 0xBF8C0F79
.long 0xD0CC0030, 0x0001003E
.long 0xD1000018, 0x00C230F2
.long 0xD1000019, 0x00C232F2
.long 0xD3B1402C, 0x18025918
.long 0xD0CC0030, 0x0001003E
.long 0xD100001A, 0x00C234F2
.long 0xD100001B, 0x00C236F2
.long 0xD3B1402E, 0x18025D1A
.long 0xD13B002C, 0x00005B28
.long 0xD13B002D, 0x00005B29
.long 0xD13B002E, 0x00005B2A
.long 0xD13B002F, 0x00005B2B
.long 0xD3B24004, 0x18025914
.long 0xD3B24006, 0x18025D16
.long 0xBEC41E3A
.long 0x7E580304
.long 0x7E5A0305
	;; [unrolled: 24-line block ×9, first 2 shown]
.long 0x7ECC0306
.long 0x7ECE0307
.long 0x8E468224
.long 0x80104610
.long 0x82118011
.long 0xE07C1000, 0x80046409
.long 0xBF800000
.long 0x8E468226
	;; [unrolled: 1-line block ×4, first 2 shown]
.long 0xE05C1000, 0x8005100A
.long 0x924602FF, 0x00000100
	;; [unrolled: 1-line block ×3, first 2 shown]
.long 0x24161682
.long 0xD9FE0000, 0x1400000B
.long 0xE05C1000, 0x800F180C
.long 0x8E468226
.long 0x80144614
.long 0x82158015
.long 0xE05C1000, 0x8005200A
.long 0x9246B426
.long 0x80144614
.long 0x82158015
	;; [unrolled: 4-line block ×9, first 2 shown]
.long 0xE05C1000, 0x8005600A
.long 0xD3D8401C, 0x18000122
.long 0xD3D8401D, 0x18000126
.long 0xD3D8401E, 0x1800012A
.long 0xD3D8401F, 0x1800012E
.long 0xD3D84024, 0x18000123
.long 0xD3D84025, 0x18000127
.long 0xD3D84026, 0x1800012B
.long 0xD3D84027, 0x1800012F
.long 0xD3D8402C, 0x18000130
.long 0xD3D8402D, 0x18000134
.long 0xD3D8402E, 0x18000138
.long 0xD3D8402F, 0x1800013C
.long 0xD3D84034, 0x18000131
.long 0xD3D84035, 0x18000135
.long 0xD3D84036, 0x18000139
.long 0xD3D84037, 0x1800013D
.long 0xD3D8403C, 0x18000132
.long 0xD3D8403D, 0x18000136
.long 0xD3D8403E, 0x1800013A
.long 0xD3D8403F, 0x1800013E
.long 0xD3D84044, 0x18000133
.long 0xD3D84045, 0x18000137
.long 0xD3D84046, 0x1800013B
.long 0xD3D84047, 0x1800013F
.long 0xD3D8404C, 0x18000140
.long 0xD3D8404D, 0x18000144
.long 0xD3D8404E, 0x18000148
.long 0xD3D8404F, 0x1800014C
.long 0xD3D84054, 0x18000141
.long 0xD3D84055, 0x18000145
.long 0xD3D84056, 0x18000149
.long 0xD3D84057, 0x1800014D
.long 0xD3D8405C, 0x18000142
.long 0xD3D8405D, 0x18000146
.long 0xD3D8405E, 0x1800014A
.long 0xD3D8405F, 0x1800014E
.long 0xD3D84064, 0x18000143
.long 0xD3D84065, 0x18000147
.long 0xD3D84066, 0x1800014B
.long 0xD3D84067, 0x1800014F
.long 0xBF800001
.long 0x0A38382C
	;; [unrolled: 1-line block ×42, first 2 shown]
.long 0xD0CC0030, 0x0001003E
.long 0xD1000018, 0x00C230F2
.long 0xD1000019, 0x00C232F2
.long 0xD3B1401C, 0x18023918
.long 0xD0CC0030, 0x0001003E
.long 0xD100001A, 0x00C234F2
.long 0xD100001B, 0x00C236F2
.long 0xD3B1401E, 0x18023D1A
.long 0xD13B001C, 0x00005B10
.long 0xD13B001D, 0x00005B11
.long 0xD13B001E, 0x00005B12
.long 0xD13B001F, 0x00005B13
.long 0xD3B24004, 0x18023914
.long 0xD3B24006, 0x18023D16
.long 0xBEC41E3A
.long 0x7E380304
.long 0x7E3A0305
.long 0x7E3C0306
.long 0x7E3E0307
.long 0x8E468224
.long 0x80104610
.long 0x82118011
.long 0xE07C1000, 0x80041C09
.long 0xBF8C0F79
.long 0xD0CC0030, 0x0001003E
.long 0xD1000018, 0x00C230F2
.long 0xD1000019, 0x00C232F2
.long 0xD3B14024, 0x18024918
.long 0xD0CC0030, 0x0001003E
.long 0xD100001A, 0x00C234F2
.long 0xD100001B, 0x00C236F2
.long 0xD3B14026, 0x18024D1A
.long 0xD13B0024, 0x00005B20
.long 0xD13B0025, 0x00005B21
.long 0xD13B0026, 0x00005B22
.long 0xD13B0027, 0x00005B23
.long 0xD3B24004, 0x18024914
.long 0xD3B24006, 0x18024D16
.long 0xBEC41E3A
.long 0x7E480304
.long 0x7E4A0305
.long 0x7E4C0306
.long 0x7E4E0307
.long 0x8E468224
.long 0x80104610
.long 0x82118011
.long 0xE07C1000, 0x80042409
.long 0xBF8C0F79
	;; [unrolled: 24-line block ×10, first 2 shown]
.long 0x9246B426
.long 0x80144614
	;; [unrolled: 1-line block ×3, first 2 shown]
.long 0xE05C1000, 0x8005100A
.long 0x924602FF, 0x00000100
	;; [unrolled: 1-line block ×3, first 2 shown]
.long 0x24161682
.long 0xD9FE0000, 0x1400000B
.long 0xE05C1000, 0x800F180C
.long 0x8E468226
.long 0x80144614
.long 0x82158015
.long 0xE05C1000, 0x8005200A
.long 0x8E468226
.long 0x80144614
.long 0x82158015
	;; [unrolled: 4-line block ×9, first 2 shown]
.long 0xE05C1000, 0x8005600A
.long 0xD3D8401C, 0x18000150
	;; [unrolled: 1-line block ×41, first 2 shown]
.long 0xBF800001
.long 0x0A38382C
	;; [unrolled: 1-line block ×42, first 2 shown]
.long 0xD0CC0030, 0x0001003E
.long 0xD1000018, 0x00C230F2
.long 0xD1000019, 0x00C232F2
.long 0xD3B1401C, 0x18023918
.long 0xD0CC0030, 0x0001003E
.long 0xD100001A, 0x00C234F2
.long 0xD100001B, 0x00C236F2
.long 0xD3B1401E, 0x18023D1A
.long 0xD13B001C, 0x00005B10
.long 0xD13B001D, 0x00005B11
.long 0xD13B001E, 0x00005B12
.long 0xD13B001F, 0x00005B13
.long 0xD3B24004, 0x18023914
.long 0xD3B24006, 0x18023D16
.long 0xBEC41E3A
.long 0x7E380304
.long 0x7E3A0305
.long 0x7E3C0306
.long 0x7E3E0307
.long 0x9246B424
.long 0x80104610
.long 0x82118011
.long 0xE07C1000, 0x80041C09
.long 0xBF8C0F79
.long 0xD0CC0030, 0x0001003E
.long 0xD1000018, 0x00C230F2
.long 0xD1000019, 0x00C232F2
.long 0xD3B14024, 0x18024918
.long 0xD0CC0030, 0x0001003E
.long 0xD100001A, 0x00C234F2
.long 0xD100001B, 0x00C236F2
.long 0xD3B14026, 0x18024D1A
.long 0xD13B0024, 0x00005B20
.long 0xD13B0025, 0x00005B21
.long 0xD13B0026, 0x00005B22
.long 0xD13B0027, 0x00005B23
.long 0xD3B24004, 0x18024914
.long 0xD3B24006, 0x18024D16
.long 0xBEC41E3A
.long 0x7E480304
.long 0x7E4A0305
.long 0x7E4C0306
.long 0x7E4E0307
.long 0x8E468224
.long 0x80104610
.long 0x82118011
.long 0xE07C1000, 0x80042409
.long 0xBF8C0F79
	;; [unrolled: 24-line block ×10, first 2 shown]
.long 0x8E468226
.long 0x80144614
	;; [unrolled: 1-line block ×3, first 2 shown]
.long 0xE05C1000, 0x8005100A
.long 0x924602FF, 0x00000100
	;; [unrolled: 1-line block ×3, first 2 shown]
.long 0x24161682
.long 0xD9FE0000, 0x1400000B
.long 0xE05C1000, 0x800F180C
.long 0x8E468226
.long 0x80144614
.long 0x82158015
.long 0xE05C1000, 0x8005200A
.long 0x9246B426
.long 0x80144614
.long 0x82158015
	;; [unrolled: 4-line block ×9, first 2 shown]
.long 0xE05C1000, 0x8005600A
.long 0xD3D8401C, 0x18000172
	;; [unrolled: 1-line block ×41, first 2 shown]
.long 0xBF800001
.long 0x0A38382C
	;; [unrolled: 1-line block ×42, first 2 shown]
.long 0xD0CC0030, 0x0001003E
.long 0xD1000018, 0x00C230F2
.long 0xD1000019, 0x00C232F2
.long 0xD3B1401C, 0x18023918
.long 0xD0CC0030, 0x0001003E
.long 0xD100001A, 0x00C234F2
.long 0xD100001B, 0x00C236F2
.long 0xD3B1401E, 0x18023D1A
.long 0xD13B001C, 0x00005B10
.long 0xD13B001D, 0x00005B11
.long 0xD13B001E, 0x00005B12
.long 0xD13B001F, 0x00005B13
.long 0xD3B24004, 0x18023914
.long 0xD3B24006, 0x18023D16
.long 0xBEC41E3A
.long 0x7E380304
.long 0x7E3A0305
.long 0x7E3C0306
.long 0x7E3E0307
.long 0x8E468224
.long 0x80104610
.long 0x82118011
.long 0xE07C1000, 0x80041C09
.long 0xBF8C0F79
.long 0xD0CC0030, 0x0001003E
.long 0xD1000018, 0x00C230F2
.long 0xD1000019, 0x00C232F2
.long 0xD3B14024, 0x18024918
.long 0xD0CC0030, 0x0001003E
.long 0xD100001A, 0x00C234F2
.long 0xD100001B, 0x00C236F2
.long 0xD3B14026, 0x18024D1A
.long 0xD13B0024, 0x00005B20
.long 0xD13B0025, 0x00005B21
.long 0xD13B0026, 0x00005B22
.long 0xD13B0027, 0x00005B23
.long 0xD3B24004, 0x18024914
.long 0xD3B24006, 0x18024D16
.long 0xBEC41E3A
.long 0x7E480304
.long 0x7E4A0305
.long 0x7E4C0306
.long 0x7E4E0307
.long 0x8E468224
.long 0x80104610
.long 0x82118011
.long 0xE07C1000, 0x80042409
.long 0xBF8C0F79
	;; [unrolled: 24-line block ×10, first 2 shown]
.long 0x9246B426
.long 0x80144614
	;; [unrolled: 1-line block ×3, first 2 shown]
.long 0xE05C1000, 0x8005100A
.long 0x924602FF, 0x00000100
	;; [unrolled: 1-line block ×3, first 2 shown]
.long 0x24161682
.long 0xD9FE0000, 0x1400000B
.long 0xE05C1000, 0x800F180C
.long 0x8E468226
.long 0x80144614
.long 0x82158015
.long 0xE05C1000, 0x8005200A
.long 0x8E468226
.long 0x80144614
.long 0x82158015
	;; [unrolled: 4-line block ×9, first 2 shown]
.long 0xE05C1000, 0x8005600A
.long 0xD3D8401C, 0x180001A0
	;; [unrolled: 1-line block ×41, first 2 shown]
.long 0xBF800001
.long 0x0A38382C
	;; [unrolled: 1-line block ×42, first 2 shown]
.long 0xD0CC0030, 0x0001003E
.long 0xD1000018, 0x00C230F2
.long 0xD1000019, 0x00C232F2
.long 0xD3B1401C, 0x18023918
.long 0xD0CC0030, 0x0001003E
.long 0xD100001A, 0x00C234F2
.long 0xD100001B, 0x00C236F2
.long 0xD3B1401E, 0x18023D1A
.long 0xD13B001C, 0x00005B10
.long 0xD13B001D, 0x00005B11
.long 0xD13B001E, 0x00005B12
.long 0xD13B001F, 0x00005B13
.long 0xD3B24004, 0x18023914
.long 0xD3B24006, 0x18023D16
.long 0xBEC41E3A
.long 0x7E380304
.long 0x7E3A0305
.long 0x7E3C0306
.long 0x7E3E0307
.long 0x9246B424
.long 0x80104610
.long 0x82118011
.long 0xE07C1000, 0x80041C09
.long 0xBF8C0F79
.long 0xD0CC0030, 0x0001003E
.long 0xD1000018, 0x00C230F2
.long 0xD1000019, 0x00C232F2
.long 0xD3B14024, 0x18024918
.long 0xD0CC0030, 0x0001003E
.long 0xD100001A, 0x00C234F2
.long 0xD100001B, 0x00C236F2
.long 0xD3B14026, 0x18024D1A
.long 0xD13B0024, 0x00005B20
.long 0xD13B0025, 0x00005B21
.long 0xD13B0026, 0x00005B22
.long 0xD13B0027, 0x00005B23
.long 0xD3B24004, 0x18024914
.long 0xD3B24006, 0x18024D16
.long 0xBEC41E3A
.long 0x7E480304
.long 0x7E4A0305
.long 0x7E4C0306
.long 0x7E4E0307
.long 0x8E468224
.long 0x80104610
.long 0x82118011
.long 0xE07C1000, 0x80042409
.long 0xBF8C0F79
	;; [unrolled: 24-line block ×10, first 2 shown]
.long 0x8E468226
.long 0x80144614
	;; [unrolled: 1-line block ×3, first 2 shown]
.long 0xE05C1000, 0x8005100A
.long 0x924602FF, 0x00000100
	;; [unrolled: 1-line block ×3, first 2 shown]
.long 0x24161682
.long 0xD9FE0000, 0x1400000B
.long 0xE05C1000, 0x800F180C
.long 0x8E468226
.long 0x80144614
.long 0x82158015
.long 0xE05C1000, 0x8005200A
.long 0x9246B426
.long 0x80144614
.long 0x82158015
	;; [unrolled: 4-line block ×9, first 2 shown]
.long 0xE05C1000, 0x8005600A
.long 0xD3D8401C, 0x180001C2
	;; [unrolled: 1-line block ×41, first 2 shown]
.long 0xBF800001
.long 0x0A38382C
	;; [unrolled: 1-line block ×42, first 2 shown]
.long 0xD0CC0030, 0x0001003E
.long 0xD1000018, 0x00C230F2
.long 0xD1000019, 0x00C232F2
.long 0xD3B1401C, 0x18023918
.long 0xD0CC0030, 0x0001003E
.long 0xD100001A, 0x00C234F2
.long 0xD100001B, 0x00C236F2
.long 0xD3B1401E, 0x18023D1A
.long 0xD13B001C, 0x00005B10
.long 0xD13B001D, 0x00005B11
.long 0xD13B001E, 0x00005B12
.long 0xD13B001F, 0x00005B13
.long 0xD3B24004, 0x18023914
.long 0xD3B24006, 0x18023D16
.long 0xBEC41E3A
.long 0x7E380304
.long 0x7E3A0305
.long 0x7E3C0306
.long 0x7E3E0307
.long 0x8E468224
.long 0x80104610
.long 0x82118011
.long 0xE07C1000, 0x80041C09
.long 0xBF8C0F79
.long 0xD0CC0030, 0x0001003E
.long 0xD1000018, 0x00C230F2
.long 0xD1000019, 0x00C232F2
.long 0xD3B14024, 0x18024918
.long 0xD0CC0030, 0x0001003E
.long 0xD100001A, 0x00C234F2
.long 0xD100001B, 0x00C236F2
.long 0xD3B14026, 0x18024D1A
.long 0xD13B0024, 0x00005B20
.long 0xD13B0025, 0x00005B21
.long 0xD13B0026, 0x00005B22
.long 0xD13B0027, 0x00005B23
.long 0xD3B24004, 0x18024914
.long 0xD3B24006, 0x18024D16
.long 0xBEC41E3A
.long 0x7E480304
.long 0x7E4A0305
.long 0x7E4C0306
.long 0x7E4E0307
.long 0x8E468224
.long 0x80104610
.long 0x82118011
.long 0xE07C1000, 0x80042409
.long 0xBF8C0F79
	;; [unrolled: 24-line block ×10, first 2 shown]
.long 0x9246B426
.long 0x80144614
	;; [unrolled: 1-line block ×3, first 2 shown]
.long 0xE05C1000, 0x8005100A
.long 0x924602FF, 0x00000100
	;; [unrolled: 1-line block ×3, first 2 shown]
.long 0x24161682
.long 0xD9FE0000, 0x1400000B
.long 0xE05C1000, 0x800F180C
.long 0x8E468226
.long 0x80144614
.long 0x82158015
.long 0xE05C1000, 0x8005200A
.long 0x8E468226
.long 0x80144614
.long 0x82158015
	;; [unrolled: 4-line block ×9, first 2 shown]
.long 0xE05C1000, 0x8005600A
.long 0xD3D8401C, 0x180001F0
	;; [unrolled: 1-line block ×17, first 2 shown]
.long 0x7E7803C0
.long 0x7E7A03C4
	;; [unrolled: 1-line block ×66, first 2 shown]
.long 0xD0CC0030, 0x0001003E
.long 0xD1000018, 0x00C230F2
.long 0xD1000019, 0x00C232F2
.long 0xD3B1401C, 0x18023918
.long 0xD0CC0030, 0x0001003E
.long 0xD100001A, 0x00C234F2
.long 0xD100001B, 0x00C236F2
.long 0xD3B1401E, 0x18023D1A
.long 0xD13B001C, 0x00005B10
.long 0xD13B001D, 0x00005B11
.long 0xD13B001E, 0x00005B12
.long 0xD13B001F, 0x00005B13
.long 0xD3B24004, 0x18023914
.long 0xD3B24006, 0x18023D16
.long 0xBEC41E3A
.long 0x7E380304
.long 0x7E3A0305
.long 0x7E3C0306
.long 0x7E3E0307
.long 0x9246B424
.long 0x80104610
.long 0x82118011
.long 0xE07C1000, 0x80041C09
.long 0xBF8C0F79
.long 0xD0CC0030, 0x0001003E
.long 0xD1000018, 0x00C230F2
.long 0xD1000019, 0x00C232F2
.long 0xD3B14024, 0x18024918
.long 0xD0CC0030, 0x0001003E
.long 0xD100001A, 0x00C234F2
.long 0xD100001B, 0x00C236F2
.long 0xD3B14026, 0x18024D1A
.long 0xD13B0024, 0x00005B20
.long 0xD13B0025, 0x00005B21
.long 0xD13B0026, 0x00005B22
.long 0xD13B0027, 0x00005B23
.long 0xD3B24004, 0x18024914
.long 0xD3B24006, 0x18024D16
.long 0xBEC41E3A
.long 0x7E480304
.long 0x7E4A0305
.long 0x7E4C0306
.long 0x7E4E0307
.long 0x8E468224
.long 0x80104610
.long 0x82118011
.long 0xE07C1000, 0x80042409
.long 0xBF8C0F79
	;; [unrolled: 24-line block ×10, first 2 shown]
.long 0x8E468226
.long 0x80144614
.long 0x82158015
.long 0xE05C1000, 0x8005100A
.long 0x924602FF, 0x00000100
	;; [unrolled: 1-line block ×3, first 2 shown]
.long 0x24161682
.long 0xD9FE0000, 0x1400000B
.long 0xE05C1000, 0x800F180C
.long 0x8E468226
.long 0x80144614
.long 0x82158015
.long 0xE05C1000, 0x8005200A
.long 0x9246B426
.long 0x80144614
.long 0x82158015
	;; [unrolled: 4-line block ×10, first 2 shown]
.long 0x7E3E03DE
.long 0x7E4803D3
.long 0x7E4A03D7
.long 0x7E4C03DB
.long 0x7E4E03DF
.long 0x7E5803E0
.long 0x7E5A03E4
.long 0x7E5C03E8
.long 0x7E5E03EC
.long 0x7E6803E1
.long 0x7E6A03E5
.long 0x7E6C03E9
.long 0x7E6E03ED
.long 0x7E7803E2
.long 0x7E7A03E6
.long 0x7E7C03EA
.long 0x7E7E03EE
.long 0x7E8803E3
.long 0x7E8A03E7
.long 0x7E8C03EB
.long 0x7E8E03EF
.long 0x7E9803F0
.long 0x7E9A03F4
.long 0x7E9C03F8
.long 0x7E9E03FC
.long 0x7EA803F1
.long 0x7EAA03F5
.long 0x7EAC03F9
.long 0x7EAE03FD
.long 0x7EB803F2
.long 0x7EBA03F6
.long 0x7EBC03FA
.long 0x7EBE03FE
.long 0x7EC803F3
.long 0x7ECA03F7
.long 0x7ECC03FB
.long 0x7ECE03FF
.long 0xBF800001
.long 0x0A38382C
.long 0x0A3A3A2C
.long 0x0A3C3C2C
.long 0x0A3E3E2C
.long 0x0A48482C
.long 0x0A4A4A2C
.long 0x0A4C4C2C
.long 0x0A4E4E2C
.long 0x0A58582C
.long 0x0A5A5A2C
.long 0x0A5C5C2C
.long 0x0A5E5E2C
.long 0x0A68682C
.long 0x0A6A6A2C
.long 0x0A6C6C2C
.long 0x0A6E6E2C
.long 0x0A78782C
.long 0x0A7A7A2C
.long 0x0A7C7C2C
.long 0x0A7E7E2C
.long 0x0A88882C
.long 0x0A8A8A2C
.long 0x0A8C8C2C
.long 0x0A8E8E2C
.long 0x0A98982C
.long 0x0A9A9A2C
.long 0x0A9C9C2C
.long 0x0A9E9E2C
.long 0x0AA8A82C
.long 0x0AAAAA2C
.long 0x0AACAC2C
.long 0x0AAEAE2C
.long 0x0AB8B82C
.long 0x0ABABA2C
.long 0x0ABCBC2C
.long 0x0ABEBE2C
.long 0x0AC8C82C
.long 0x0ACACA2C
.long 0x0ACCCC2C
.long 0x0ACECE2C
.long 0xBF8C0079
.long 0xD0CC0030, 0x0001003E
.long 0xD1000018, 0x00C230F2
.long 0xD1000019, 0x00C232F2
.long 0xD3B1401C, 0x18023918
.long 0xD0CC0030, 0x0001003E
.long 0xD100001A, 0x00C234F2
.long 0xD100001B, 0x00C236F2
.long 0xD3B1401E, 0x18023D1A
.long 0xD13B001C, 0x00005B10
.long 0xD13B001D, 0x00005B11
.long 0xD13B001E, 0x00005B12
.long 0xD13B001F, 0x00005B13
.long 0xD3B24004, 0x18023914
.long 0xD3B24006, 0x18023D16
.long 0xBEC41E3A
.long 0x7E380304
.long 0x7E3A0305
.long 0x7E3C0306
.long 0x7E3E0307
.long 0x8E468224
.long 0x80104610
.long 0x82118011
.long 0xE07C1000, 0x80041C09
.long 0xBF8C0F79
.long 0xD0CC0030, 0x0001003E
.long 0xD1000018, 0x00C230F2
.long 0xD1000019, 0x00C232F2
.long 0xD3B14024, 0x18024918
.long 0xD0CC0030, 0x0001003E
.long 0xD100001A, 0x00C234F2
.long 0xD100001B, 0x00C236F2
.long 0xD3B14026, 0x18024D1A
.long 0xD13B0024, 0x00005B20
.long 0xD13B0025, 0x00005B21
.long 0xD13B0026, 0x00005B22
.long 0xD13B0027, 0x00005B23
.long 0xD3B24004, 0x18024914
.long 0xD3B24006, 0x18024D16
.long 0xBEC41E3A
.long 0x7E480304
.long 0x7E4A0305
.long 0x7E4C0306
.long 0x7E4E0307
.long 0x8E468224
.long 0x80104610
.long 0x82118011
.long 0xE07C1000, 0x80042409
.long 0xBF8C0F79
	;; [unrolled: 24-line block ×10, first 2 shown]
.long 0xBF8217FD
.long 0x7EC202FF, 0x80000000
.long 0xD0C90046, 0x00003100
	;; [unrolled: 1-line block ×3, first 2 shown]
.long 0x86CA4A46
.long 0xD1FE0009, 0x020A0102
.long 0xD1000009, 0x012A1361
	;; [unrolled: 1-line block ×5, first 2 shown]
.long 0x24141482
.long 0xD100000A, 0x012A1561
.long 0xBF8CC07F
.long 0xBF8A0000
.long 0xD9FE0000, 0x1000000A
.long 0x24160082
.long 0xE05C1000, 0x800F140B
.long 0xD1FE0009, 0x020A0103
	;; [unrolled: 1-line block ×8, first 2 shown]
.long 0x86CA4A46
.long 0xD1FE001C, 0x020A0102
.long 0xD100001C, 0x012A3961
.long 0xE05C1000, 0x8005201C
.long 0x924602FF, 0x00000100
.long 0xD135001D, 0x00008D00
.long 0x243A3A82
.long 0xD100001D, 0x012A3B61
.long 0x243C0082
.long 0xD1FE001C, 0x020A0103
.long 0xD100001C, 0x012A3961
	;; [unrolled: 1-line block ×7, first 2 shown]
.long 0x86CA4A46
.long 0xD1FE001F, 0x020A0102
.long 0xD100001F, 0x012A3F61
	;; [unrolled: 1-line block ×5, first 2 shown]
.long 0x24505082
.long 0xD1000028, 0x012A5161
.long 0x24520082
.long 0xD1FE001F, 0x020A0103
.long 0xD100001F, 0x012A3F61
	;; [unrolled: 1-line block ×7, first 2 shown]
.long 0x86CA4A46
.long 0xD1FE002A, 0x020A0102
.long 0xD100002A, 0x012A5561
	;; [unrolled: 1-line block ×5, first 2 shown]
.long 0x24565682
.long 0xD100002B, 0x012A5761
.long 0x24680082
.long 0xD1FE002A, 0x020A0103
.long 0xD100002A, 0x012A5561
	;; [unrolled: 1-line block ×3, first 2 shown]
.long 0x92468D26
.long 0xD1340002, 0x00008D02
.long 0x92468D24
.long 0xD1340003, 0x00008D03
.long 0xD0C90046, 0x00003100
.long 0xD0C9004A, 0x00003301
.long 0x86CA4A46
.long 0xD1FE0035, 0x020A0102
.long 0xD1000035, 0x012A6B61
.long 0xE05C1000, 0x80054035
.long 0x924602FF, 0x00000100
.long 0xD1350036, 0x00008D00
.long 0x246C6C82
.long 0xD1000036, 0x012A6D61
.long 0x246E0082
.long 0xD1FE0035, 0x020A0103
.long 0xD1000035, 0x012A6B61
.long 0xD1196A01, 0x00010301
.long 0xD1340002, 0x00004D02
.long 0xD1340003, 0x00004903
.long 0xD0C90046, 0x00003100
.long 0xD0C9004A, 0x00003301
.long 0x86CA4A46
.long 0xD1FE0048, 0x020A0102
.long 0xD1000048, 0x012A9161
.long 0xE05C1000, 0x80054C48
.long 0x924602FF, 0x00000100
.long 0xD1350049, 0x00008D00
.long 0x24929282
.long 0xD1000049, 0x012A9361
.long 0x24940082
.long 0xD1FE0048, 0x020A0103
.long 0xD1000048, 0x012A9161
.long 0xD1196A01, 0x00010301
.long 0xD1340002, 0x00004D02
	;; [unrolled: 16-line block ×4, first 2 shown]
.long 0xD3D8401A, 0x18000108
.long 0xD3D8401B, 0x1800010C
.long 0xD3D84024, 0x18000101
.long 0xD3D84025, 0x18000105
.long 0xD3D84026, 0x18000109
.long 0xD3D84027, 0x1800010D
.long 0xD3D84030, 0x18000102
.long 0xD3D84031, 0x18000106
.long 0xD3D84032, 0x1800010A
.long 0xD3D84033, 0x1800010E
.long 0xD3D8403C, 0x18000103
.long 0xD3D8403D, 0x18000107
.long 0xD3D8403E, 0x1800010B
.long 0xD3D8403F, 0x1800010F
.long 0xD3D84044, 0x18000110
.long 0xD3D84045, 0x18000114
.long 0xD3D84046, 0x18000118
.long 0xD3D84047, 0x1800011C
.long 0xD3D84050, 0x18000111
.long 0xD3D84051, 0x18000115
.long 0xD3D84052, 0x18000119
.long 0xD3D84053, 0x1800011D
.long 0xD3D8405C, 0x18000112
.long 0xD3D8405D, 0x18000116
.long 0xD3D8405E, 0x1800011A
.long 0xD3D8405F, 0x1800011E
.long 0xD3D84068, 0x18000113
.long 0xD3D84069, 0x18000117
.long 0xD3D8406A, 0x1800011B
.long 0xD3D8406B, 0x1800011F
.long 0xBF800001
.long 0x0A30302C
	;; [unrolled: 1-line block ×34, first 2 shown]
.long 0xD0CC0030, 0x0001003E
.long 0xD1000014, 0x00C228F2
.long 0xD1000015, 0x00C22AF2
.long 0xD3B14018, 0x18023114
.long 0xD0CC0030, 0x0001003E
.long 0xD1000016, 0x00C22CF2
.long 0xD1000017, 0x00C22EF2
.long 0xD3B1401A, 0x18023516
.long 0xD13B0018, 0x00005B0C
.long 0xD13B0019, 0x00005B0D
.long 0xD13B001A, 0x00005B0E
.long 0xD13B001B, 0x00005B0F
.long 0xD3B24004, 0x18023110
.long 0xD3B24006, 0x18023512
.long 0xBEC41E3A
.long 0x7E300304
.long 0x7E320305
.long 0x7E340306
.long 0x7E360307
.long 0xE07C1000, 0x80041809
.long 0xD0CC0030, 0x0001003E
.long 0xD1000014, 0x00C228F2
.long 0xD1000015, 0x00C22AF2
.long 0xD3B14024, 0x18024914
.long 0xD0CC0030, 0x0001003E
.long 0xD1000016, 0x00C22CF2
.long 0xD1000017, 0x00C22EF2
.long 0xD3B14026, 0x18024D16
.long 0xD13B0024, 0x00005B20
.long 0xD13B0025, 0x00005B21
.long 0xD13B0026, 0x00005B22
.long 0xD13B0027, 0x00005B23
.long 0xD3B24004, 0x18024910
.long 0xD3B24006, 0x18024D12
.long 0xBEC41E3A
.long 0x7E480304
.long 0x7E4A0305
.long 0x7E4C0306
.long 0x7E4E0307
.long 0xE07C1000, 0x8004241C
	;; [unrolled: 20-line block ×8, first 2 shown]
.long 0xBF800000
.long 0x7EC202FF, 0x80000000
.long 0xD1196A01, 0x00011B01
.long 0x92468D26
.long 0xD1340002, 0x00008D02
.long 0x92468D24
.long 0xD1340003, 0x00008D03
.long 0xD0C90046, 0x00003100
.long 0xD0C9004A, 0x00003301
.long 0x86CA4A46
.long 0xD1FE0009, 0x020A0102
.long 0xD1000009, 0x012A1361
.long 0xE05C1000, 0x80050C09
.long 0x924602FF, 0x00000100
.long 0xD135000A, 0x00008D00
.long 0x24141482
.long 0xD100000A, 0x012A1561
.long 0xD9FE0000, 0x1000000A
.long 0x24160082
.long 0xE05C1000, 0x800F140B
.long 0xD1FE0009, 0x020A0103
	;; [unrolled: 1-line block ×8, first 2 shown]
.long 0x86CA4A46
.long 0xD1FE001C, 0x020A0102
.long 0xD100001C, 0x012A3961
	;; [unrolled: 1-line block ×5, first 2 shown]
.long 0x243A3A82
.long 0xD100001D, 0x012A3B61
.long 0x243C0082
.long 0xD1FE001C, 0x020A0103
.long 0xD100001C, 0x012A3961
	;; [unrolled: 1-line block ×7, first 2 shown]
.long 0x86CA4A46
.long 0xD1FE001F, 0x020A0102
.long 0xD100001F, 0x012A3F61
.long 0xE05C1000, 0x80052C1F
.long 0x924602FF, 0x00000100
.long 0xD1350028, 0x00008D00
.long 0x24505082
.long 0xD1000028, 0x012A5161
.long 0x24520082
.long 0xD1FE001F, 0x020A0103
.long 0xD100001F, 0x012A3F61
.long 0xD1196A01, 0x00010301
.long 0xD1340002, 0x00004D02
.long 0xD1340003, 0x00004903
.long 0xD0C90046, 0x00003100
.long 0xD0C9004A, 0x00003301
.long 0x86CA4A46
.long 0xD1FE002A, 0x020A0102
.long 0xD100002A, 0x012A5561
	;; [unrolled: 1-line block ×5, first 2 shown]
.long 0x24565682
.long 0xD100002B, 0x012A5761
.long 0x24680082
.long 0xD1FE002A, 0x020A0103
.long 0xD100002A, 0x012A5561
	;; [unrolled: 1-line block ×3, first 2 shown]
.long 0x92468D26
.long 0xD1340002, 0x00008D02
.long 0x92468D24
.long 0xD1340003, 0x00008D03
.long 0xD0C90046, 0x00003100
.long 0xD0C9004A, 0x00003301
.long 0x86CA4A46
.long 0xD1FE0035, 0x020A0102
.long 0xD1000035, 0x012A6B61
.long 0xE05C1000, 0x80054035
.long 0x924602FF, 0x00000100
.long 0xD1350036, 0x00008D00
.long 0x246C6C82
.long 0xD1000036, 0x012A6D61
.long 0x246E0082
.long 0xD1FE0035, 0x020A0103
.long 0xD1000035, 0x012A6B61
.long 0xD1196A01, 0x00010301
.long 0xD1340002, 0x00004D02
.long 0xD1340003, 0x00004903
.long 0xD0C90046, 0x00003100
.long 0xD0C9004A, 0x00003301
.long 0x86CA4A46
.long 0xD1FE0048, 0x020A0102
.long 0xD1000048, 0x012A9161
.long 0xE05C1000, 0x80054C48
.long 0x924602FF, 0x00000100
.long 0xD1350049, 0x00008D00
.long 0x24929282
.long 0xD1000049, 0x012A9361
.long 0x24940082
.long 0xD1FE0048, 0x020A0103
.long 0xD1000048, 0x012A9161
.long 0xD1196A01, 0x00010301
.long 0xD1340002, 0x00004D02
	;; [unrolled: 16-line block ×4, first 2 shown]
.long 0xD3D8401A, 0x18000128
.long 0xD3D8401B, 0x1800012C
.long 0xD3D84024, 0x18000121
.long 0xD3D84025, 0x18000125
.long 0xD3D84026, 0x18000129
.long 0xD3D84027, 0x1800012D
.long 0xD3D84030, 0x18000122
.long 0xD3D84031, 0x18000126
.long 0xD3D84032, 0x1800012A
.long 0xD3D84033, 0x1800012E
.long 0xD3D8403C, 0x18000123
.long 0xD3D8403D, 0x18000127
.long 0xD3D8403E, 0x1800012B
.long 0xD3D8403F, 0x1800012F
.long 0xD3D84044, 0x18000130
.long 0xD3D84045, 0x18000134
.long 0xD3D84046, 0x18000138
.long 0xD3D84047, 0x1800013C
.long 0xD3D84050, 0x18000131
.long 0xD3D84051, 0x18000135
.long 0xD3D84052, 0x18000139
.long 0xD3D84053, 0x1800013D
.long 0xD3D8405C, 0x18000132
.long 0xD3D8405D, 0x18000136
.long 0xD3D8405E, 0x1800013A
.long 0xD3D8405F, 0x1800013E
.long 0xD3D84068, 0x18000133
.long 0xD3D84069, 0x18000137
.long 0xD3D8406A, 0x1800013B
.long 0xD3D8406B, 0x1800013F
.long 0xBF800001
.long 0x0A30302C
	;; [unrolled: 1-line block ×34, first 2 shown]
.long 0xD0CC0030, 0x0001003E
.long 0xD1000014, 0x00C228F2
.long 0xD1000015, 0x00C22AF2
.long 0xD3B14018, 0x18023114
.long 0xD0CC0030, 0x0001003E
.long 0xD1000016, 0x00C22CF2
.long 0xD1000017, 0x00C22EF2
.long 0xD3B1401A, 0x18023516
.long 0xD13B0018, 0x00005B0C
.long 0xD13B0019, 0x00005B0D
.long 0xD13B001A, 0x00005B0E
.long 0xD13B001B, 0x00005B0F
.long 0xD3B24004, 0x18023110
.long 0xD3B24006, 0x18023512
.long 0xBEC41E3A
.long 0x7E300304
.long 0x7E320305
.long 0x7E340306
.long 0x7E360307
.long 0xE07C1000, 0x80041809
.long 0xD0CC0030, 0x0001003E
.long 0xD1000014, 0x00C228F2
.long 0xD1000015, 0x00C22AF2
.long 0xD3B14024, 0x18024914
.long 0xD0CC0030, 0x0001003E
.long 0xD1000016, 0x00C22CF2
.long 0xD1000017, 0x00C22EF2
.long 0xD3B14026, 0x18024D16
.long 0xD13B0024, 0x00005B20
.long 0xD13B0025, 0x00005B21
.long 0xD13B0026, 0x00005B22
.long 0xD13B0027, 0x00005B23
.long 0xD3B24004, 0x18024910
.long 0xD3B24006, 0x18024D12
.long 0xBEC41E3A
.long 0x7E480304
.long 0x7E4A0305
.long 0x7E4C0306
.long 0x7E4E0307
.long 0xE07C1000, 0x8004241C
.long 0xD0CC0030, 0x0001003E
.long 0xD1000014, 0x00C228F2
.long 0xD1000015, 0x00C22AF2
.long 0xD3B14030, 0x18026114
.long 0xD0CC0030, 0x0001003E
.long 0xD1000016, 0x00C22CF2
.long 0xD1000017, 0x00C22EF2
.long 0xD3B14032, 0x18026516
.long 0xD13B0030, 0x00005B2C
.long 0xD13B0031, 0x00005B2D
.long 0xD13B0032, 0x00005B2E
.long 0xD13B0033, 0x00005B2F
.long 0xD3B24004, 0x18026110
.long 0xD3B24006, 0x18026512
.long 0xBEC41E3A
.long 0x7E600304
.long 0x7E620305
.long 0x7E640306
.long 0x7E660307
.long 0xE07C1000, 0x8004301F
.long 0xD0CC0030, 0x0001003E
.long 0xD1000014, 0x00C228F2
.long 0xD1000015, 0x00C22AF2
.long 0xD3B1403C, 0x18027914
.long 0xD0CC0030, 0x0001003E
.long 0xD1000016, 0x00C22CF2
.long 0xD1000017, 0x00C22EF2
.long 0xD3B1403E, 0x18027D16
.long 0xD13B003C, 0x00005B38
.long 0xD13B003D, 0x00005B39
.long 0xD13B003E, 0x00005B3A
.long 0xD13B003F, 0x00005B3B
.long 0xD3B24004, 0x18027910
.long 0xD3B24006, 0x18027D12
.long 0xBEC41E3A
.long 0x7E780304
.long 0x7E7A0305
.long 0x7E7C0306
.long 0x7E7E0307
.long 0xE07C1000, 0x80043C2A
.long 0xD0CC0030, 0x0001003E
.long 0xD1000014, 0x00C228F2
.long 0xD1000015, 0x00C22AF2
.long 0xD3B14044, 0x18028914
.long 0xD0CC0030, 0x0001003E
.long 0xD1000016, 0x00C22CF2
.long 0xD1000017, 0x00C22EF2
.long 0xD3B14046, 0x18028D16
.long 0xD13B0044, 0x00005B40
.long 0xD13B0045, 0x00005B41
.long 0xD13B0046, 0x00005B42
.long 0xD13B0047, 0x00005B43
.long 0xD3B24004, 0x18028910
.long 0xD3B24006, 0x18028D12
.long 0xBEC41E3A
.long 0x7E880304
.long 0x7E8A0305
.long 0x7E8C0306
.long 0x7E8E0307
.long 0xE07C1000, 0x80044435
.long 0xD0CC0030, 0x0001003E
.long 0xD1000014, 0x00C228F2
.long 0xD1000015, 0x00C22AF2
.long 0xD3B14050, 0x1802A114
.long 0xD0CC0030, 0x0001003E
.long 0xD1000016, 0x00C22CF2
.long 0xD1000017, 0x00C22EF2
.long 0xD3B14052, 0x1802A516
.long 0xD13B0050, 0x00005B4C
.long 0xD13B0051, 0x00005B4D
.long 0xD13B0052, 0x00005B4E
.long 0xD13B0053, 0x00005B4F
.long 0xD3B24004, 0x1802A110
.long 0xD3B24006, 0x1802A512
.long 0xBEC41E3A
.long 0x7EA00304
.long 0x7EA20305
.long 0x7EA40306
.long 0x7EA60307
.long 0xE07C1000, 0x80045048
.long 0xD0CC0030, 0x0001003E
.long 0xD1000014, 0x00C228F2
.long 0xD1000015, 0x00C22AF2
.long 0xD3B1405C, 0x1802B914
.long 0xD0CC0030, 0x0001003E
.long 0xD1000016, 0x00C22CF2
.long 0xD1000017, 0x00C22EF2
.long 0xD3B1405E, 0x1802BD16
.long 0xD13B005C, 0x00005B58
.long 0xD13B005D, 0x00005B59
.long 0xD13B005E, 0x00005B5A
.long 0xD13B005F, 0x00005B5B
.long 0xD3B24004, 0x1802B910
.long 0xD3B24006, 0x1802BD12
.long 0xBEC41E3A
.long 0x7EB80304
.long 0x7EBA0305
.long 0x7EBC0306
.long 0x7EBE0307
.long 0xE07C1000, 0x80045C4B
.long 0xD0CC0030, 0x0001003E
.long 0xD1000014, 0x00C228F2
.long 0xD1000015, 0x00C22AF2
.long 0xD3B14068, 0x1802D114
.long 0xD0CC0030, 0x0001003E
.long 0xD1000016, 0x00C22CF2
.long 0xD1000017, 0x00C22EF2
.long 0xD3B1406A, 0x1802D516
.long 0xD13B0068, 0x00005B64
.long 0xD13B0069, 0x00005B65
.long 0xD13B006A, 0x00005B66
.long 0xD13B006B, 0x00005B67
.long 0xD3B24004, 0x1802D110
.long 0xD3B24006, 0x1802D512
.long 0xBEC41E3A
.long 0x7ED00304
.long 0x7ED20305
.long 0x7ED40306
.long 0x7ED60307
.long 0xE07C1000, 0x80046856
.long 0xBF800000
.long 0x7EC202FF, 0x80000000
.long 0xD1196A01, 0x00011B01
.long 0x92468D26
.long 0xD1340002, 0x00008D02
.long 0x92468D24
.long 0xD1340003, 0x00008D03
.long 0xD0C90046, 0x00003100
	;; [unrolled: 1-line block ×3, first 2 shown]
.long 0x86CA4A46
.long 0xD1FE0009, 0x020A0102
.long 0xD1000009, 0x012A1361
	;; [unrolled: 1-line block ×5, first 2 shown]
.long 0x24141482
.long 0xD100000A, 0x012A1561
.long 0xD9FE0000, 0x1000000A
.long 0x24160082
.long 0xE05C1000, 0x800F140B
.long 0xD1FE0009, 0x020A0103
	;; [unrolled: 1-line block ×8, first 2 shown]
.long 0x86CA4A46
.long 0xD1FE001C, 0x020A0102
.long 0xD100001C, 0x012A3961
	;; [unrolled: 1-line block ×5, first 2 shown]
.long 0x243A3A82
.long 0xD100001D, 0x012A3B61
.long 0x243C0082
.long 0xD1FE001C, 0x020A0103
.long 0xD100001C, 0x012A3961
	;; [unrolled: 1-line block ×7, first 2 shown]
.long 0x86CA4A46
.long 0xD1FE001F, 0x020A0102
.long 0xD100001F, 0x012A3F61
	;; [unrolled: 1-line block ×5, first 2 shown]
.long 0x24505082
.long 0xD1000028, 0x012A5161
.long 0x24520082
.long 0xD1FE001F, 0x020A0103
.long 0xD100001F, 0x012A3F61
	;; [unrolled: 1-line block ×7, first 2 shown]
.long 0x86CA4A46
.long 0xD1FE002A, 0x020A0102
.long 0xD100002A, 0x012A5561
	;; [unrolled: 1-line block ×5, first 2 shown]
.long 0x24565682
.long 0xD100002B, 0x012A5761
.long 0x24680082
.long 0xD1FE002A, 0x020A0103
.long 0xD100002A, 0x012A5561
	;; [unrolled: 1-line block ×3, first 2 shown]
.long 0x92468D26
.long 0xD1340002, 0x00008D02
.long 0x92468D24
.long 0xD1340003, 0x00008D03
.long 0xD0C90046, 0x00003100
.long 0xD0C9004A, 0x00003301
.long 0x86CA4A46
.long 0xD1FE0035, 0x020A0102
.long 0xD1000035, 0x012A6B61
.long 0xE05C1000, 0x80054035
.long 0x924602FF, 0x00000100
.long 0xD1350036, 0x00008D00
.long 0x246C6C82
.long 0xD1000036, 0x012A6D61
.long 0x246E0082
.long 0xD1FE0035, 0x020A0103
.long 0xD1000035, 0x012A6B61
.long 0xD1196A01, 0x00010301
.long 0xD1340002, 0x00004D02
.long 0xD1340003, 0x00004903
.long 0xD0C90046, 0x00003100
.long 0xD0C9004A, 0x00003301
.long 0x86CA4A46
.long 0xD1FE0048, 0x020A0102
.long 0xD1000048, 0x012A9161
.long 0xE05C1000, 0x80054C48
.long 0x924602FF, 0x00000100
.long 0xD1350049, 0x00008D00
.long 0x24929282
.long 0xD1000049, 0x012A9361
.long 0x24940082
.long 0xD1FE0048, 0x020A0103
.long 0xD1000048, 0x012A9161
.long 0xD1196A01, 0x00010301
.long 0xD1340002, 0x00004D02
	;; [unrolled: 16-line block ×4, first 2 shown]
.long 0xD3D8401A, 0x18000148
.long 0xD3D8401B, 0x1800014C
	;; [unrolled: 1-line block ×30, first 2 shown]
.long 0xBF800001
.long 0x0A30302C
	;; [unrolled: 1-line block ×34, first 2 shown]
.long 0xD0CC0030, 0x0001003E
.long 0xD1000014, 0x00C228F2
.long 0xD1000015, 0x00C22AF2
.long 0xD3B14018, 0x18023114
.long 0xD0CC0030, 0x0001003E
.long 0xD1000016, 0x00C22CF2
.long 0xD1000017, 0x00C22EF2
.long 0xD3B1401A, 0x18023516
.long 0xD13B0018, 0x00005B0C
.long 0xD13B0019, 0x00005B0D
.long 0xD13B001A, 0x00005B0E
.long 0xD13B001B, 0x00005B0F
.long 0xD3B24004, 0x18023110
.long 0xD3B24006, 0x18023512
.long 0xBEC41E3A
.long 0x7E300304
.long 0x7E320305
.long 0x7E340306
.long 0x7E360307
.long 0xE07C1000, 0x80041809
.long 0xD0CC0030, 0x0001003E
.long 0xD1000014, 0x00C228F2
.long 0xD1000015, 0x00C22AF2
.long 0xD3B14024, 0x18024914
.long 0xD0CC0030, 0x0001003E
.long 0xD1000016, 0x00C22CF2
.long 0xD1000017, 0x00C22EF2
.long 0xD3B14026, 0x18024D16
.long 0xD13B0024, 0x00005B20
.long 0xD13B0025, 0x00005B21
.long 0xD13B0026, 0x00005B22
.long 0xD13B0027, 0x00005B23
.long 0xD3B24004, 0x18024910
.long 0xD3B24006, 0x18024D12
.long 0xBEC41E3A
.long 0x7E480304
.long 0x7E4A0305
.long 0x7E4C0306
.long 0x7E4E0307
.long 0xE07C1000, 0x8004241C
	;; [unrolled: 20-line block ×8, first 2 shown]
.long 0xBF800000
.long 0x7EC202FF, 0x80000000
.long 0xD1196A01, 0x00011B01
.long 0x92468D26
.long 0xD1340002, 0x00008D02
.long 0x92468D24
.long 0xD1340003, 0x00008D03
.long 0xD0C90046, 0x00003100
.long 0xD0C9004A, 0x00003301
.long 0x86CA4A46
.long 0xD1FE0009, 0x020A0102
.long 0xD1000009, 0x012A1361
.long 0xE05C1000, 0x80050C09
.long 0x924602FF, 0x00000100
.long 0xD135000A, 0x00008D00
.long 0x24141482
.long 0xD100000A, 0x012A1561
.long 0xD9FE0000, 0x1000000A
.long 0x24160082
.long 0xE05C1000, 0x800F140B
.long 0xD1FE0009, 0x020A0103
	;; [unrolled: 1-line block ×8, first 2 shown]
.long 0x86CA4A46
.long 0xD1FE001C, 0x020A0102
.long 0xD100001C, 0x012A3961
	;; [unrolled: 1-line block ×5, first 2 shown]
.long 0x243A3A82
.long 0xD100001D, 0x012A3B61
.long 0x243C0082
.long 0xD1FE001C, 0x020A0103
.long 0xD100001C, 0x012A3961
	;; [unrolled: 1-line block ×7, first 2 shown]
.long 0x86CA4A46
.long 0xD1FE001F, 0x020A0102
.long 0xD100001F, 0x012A3F61
	;; [unrolled: 1-line block ×5, first 2 shown]
.long 0x24505082
.long 0xD1000028, 0x012A5161
.long 0x24520082
.long 0xD1FE001F, 0x020A0103
.long 0xD100001F, 0x012A3F61
	;; [unrolled: 1-line block ×7, first 2 shown]
.long 0x86CA4A46
.long 0xD1FE002A, 0x020A0102
.long 0xD100002A, 0x012A5561
	;; [unrolled: 1-line block ×5, first 2 shown]
.long 0x24565682
.long 0xD100002B, 0x012A5761
.long 0x24680082
.long 0xD1FE002A, 0x020A0103
.long 0xD100002A, 0x012A5561
	;; [unrolled: 1-line block ×3, first 2 shown]
.long 0x92468D26
.long 0xD1340002, 0x00008D02
.long 0x92468D24
.long 0xD1340003, 0x00008D03
.long 0xD0C90046, 0x00003100
.long 0xD0C9004A, 0x00003301
.long 0x86CA4A46
.long 0xD1FE0035, 0x020A0102
.long 0xD1000035, 0x012A6B61
.long 0xE05C1000, 0x80054035
.long 0x924602FF, 0x00000100
.long 0xD1350036, 0x00008D00
.long 0x246C6C82
.long 0xD1000036, 0x012A6D61
.long 0x246E0082
.long 0xD1FE0035, 0x020A0103
.long 0xD1000035, 0x012A6B61
.long 0xD1196A01, 0x00010301
.long 0xD1340002, 0x00004D02
.long 0xD1340003, 0x00004903
.long 0xD0C90046, 0x00003100
.long 0xD0C9004A, 0x00003301
.long 0x86CA4A46
.long 0xD1FE0048, 0x020A0102
.long 0xD1000048, 0x012A9161
.long 0xE05C1000, 0x80054C48
.long 0x924602FF, 0x00000100
.long 0xD1350049, 0x00008D00
.long 0x24929282
.long 0xD1000049, 0x012A9361
.long 0x24940082
.long 0xD1FE0048, 0x020A0103
.long 0xD1000048, 0x012A9161
.long 0xD1196A01, 0x00010301
.long 0xD1340002, 0x00004D02
	;; [unrolled: 16-line block ×4, first 2 shown]
.long 0xD3D8401A, 0x18000168
.long 0xD3D8401B, 0x1800016C
	;; [unrolled: 1-line block ×30, first 2 shown]
.long 0xBF800001
.long 0x0A30302C
	;; [unrolled: 1-line block ×34, first 2 shown]
.long 0xD0CC0030, 0x0001003E
.long 0xD1000014, 0x00C228F2
.long 0xD1000015, 0x00C22AF2
.long 0xD3B14018, 0x18023114
.long 0xD0CC0030, 0x0001003E
.long 0xD1000016, 0x00C22CF2
.long 0xD1000017, 0x00C22EF2
.long 0xD3B1401A, 0x18023516
.long 0xD13B0018, 0x00005B0C
.long 0xD13B0019, 0x00005B0D
.long 0xD13B001A, 0x00005B0E
.long 0xD13B001B, 0x00005B0F
.long 0xD3B24004, 0x18023110
.long 0xD3B24006, 0x18023512
.long 0xBEC41E3A
.long 0x7E300304
.long 0x7E320305
.long 0x7E340306
.long 0x7E360307
.long 0xE07C1000, 0x80041809
.long 0xD0CC0030, 0x0001003E
.long 0xD1000014, 0x00C228F2
.long 0xD1000015, 0x00C22AF2
.long 0xD3B14024, 0x18024914
.long 0xD0CC0030, 0x0001003E
.long 0xD1000016, 0x00C22CF2
.long 0xD1000017, 0x00C22EF2
.long 0xD3B14026, 0x18024D16
.long 0xD13B0024, 0x00005B20
.long 0xD13B0025, 0x00005B21
.long 0xD13B0026, 0x00005B22
.long 0xD13B0027, 0x00005B23
.long 0xD3B24004, 0x18024910
.long 0xD3B24006, 0x18024D12
.long 0xBEC41E3A
.long 0x7E480304
.long 0x7E4A0305
.long 0x7E4C0306
.long 0x7E4E0307
.long 0xE07C1000, 0x8004241C
.long 0xD0CC0030, 0x0001003E
.long 0xD1000014, 0x00C228F2
.long 0xD1000015, 0x00C22AF2
.long 0xD3B14030, 0x18026114
.long 0xD0CC0030, 0x0001003E
.long 0xD1000016, 0x00C22CF2
.long 0xD1000017, 0x00C22EF2
.long 0xD3B14032, 0x18026516
.long 0xD13B0030, 0x00005B2C
.long 0xD13B0031, 0x00005B2D
.long 0xD13B0032, 0x00005B2E
.long 0xD13B0033, 0x00005B2F
.long 0xD3B24004, 0x18026110
.long 0xD3B24006, 0x18026512
.long 0xBEC41E3A
.long 0x7E600304
.long 0x7E620305
.long 0x7E640306
.long 0x7E660307
.long 0xE07C1000, 0x8004301F
.long 0xD0CC0030, 0x0001003E
.long 0xD1000014, 0x00C228F2
.long 0xD1000015, 0x00C22AF2
.long 0xD3B1403C, 0x18027914
.long 0xD0CC0030, 0x0001003E
.long 0xD1000016, 0x00C22CF2
.long 0xD1000017, 0x00C22EF2
.long 0xD3B1403E, 0x18027D16
.long 0xD13B003C, 0x00005B38
.long 0xD13B003D, 0x00005B39
.long 0xD13B003E, 0x00005B3A
.long 0xD13B003F, 0x00005B3B
.long 0xD3B24004, 0x18027910
.long 0xD3B24006, 0x18027D12
.long 0xBEC41E3A
.long 0x7E780304
.long 0x7E7A0305
.long 0x7E7C0306
.long 0x7E7E0307
.long 0xE07C1000, 0x80043C2A
.long 0xD0CC0030, 0x0001003E
.long 0xD1000014, 0x00C228F2
.long 0xD1000015, 0x00C22AF2
.long 0xD3B14044, 0x18028914
.long 0xD0CC0030, 0x0001003E
.long 0xD1000016, 0x00C22CF2
.long 0xD1000017, 0x00C22EF2
.long 0xD3B14046, 0x18028D16
.long 0xD13B0044, 0x00005B40
.long 0xD13B0045, 0x00005B41
.long 0xD13B0046, 0x00005B42
.long 0xD13B0047, 0x00005B43
.long 0xD3B24004, 0x18028910
.long 0xD3B24006, 0x18028D12
.long 0xBEC41E3A
.long 0x7E880304
.long 0x7E8A0305
.long 0x7E8C0306
.long 0x7E8E0307
.long 0xE07C1000, 0x80044435
.long 0xD0CC0030, 0x0001003E
.long 0xD1000014, 0x00C228F2
.long 0xD1000015, 0x00C22AF2
.long 0xD3B14050, 0x1802A114
.long 0xD0CC0030, 0x0001003E
.long 0xD1000016, 0x00C22CF2
.long 0xD1000017, 0x00C22EF2
.long 0xD3B14052, 0x1802A516
.long 0xD13B0050, 0x00005B4C
.long 0xD13B0051, 0x00005B4D
.long 0xD13B0052, 0x00005B4E
.long 0xD13B0053, 0x00005B4F
.long 0xD3B24004, 0x1802A110
.long 0xD3B24006, 0x1802A512
.long 0xBEC41E3A
.long 0x7EA00304
.long 0x7EA20305
.long 0x7EA40306
.long 0x7EA60307
.long 0xE07C1000, 0x80045048
.long 0xD0CC0030, 0x0001003E
.long 0xD1000014, 0x00C228F2
.long 0xD1000015, 0x00C22AF2
.long 0xD3B1405C, 0x1802B914
.long 0xD0CC0030, 0x0001003E
.long 0xD1000016, 0x00C22CF2
.long 0xD1000017, 0x00C22EF2
.long 0xD3B1405E, 0x1802BD16
.long 0xD13B005C, 0x00005B58
.long 0xD13B005D, 0x00005B59
.long 0xD13B005E, 0x00005B5A
.long 0xD13B005F, 0x00005B5B
.long 0xD3B24004, 0x1802B910
.long 0xD3B24006, 0x1802BD12
.long 0xBEC41E3A
.long 0x7EB80304
.long 0x7EBA0305
.long 0x7EBC0306
.long 0x7EBE0307
.long 0xE07C1000, 0x80045C4B
.long 0xD0CC0030, 0x0001003E
.long 0xD1000014, 0x00C228F2
.long 0xD1000015, 0x00C22AF2
.long 0xD3B14068, 0x1802D114
.long 0xD0CC0030, 0x0001003E
.long 0xD1000016, 0x00C22CF2
.long 0xD1000017, 0x00C22EF2
.long 0xD3B1406A, 0x1802D516
.long 0xD13B0068, 0x00005B64
.long 0xD13B0069, 0x00005B65
.long 0xD13B006A, 0x00005B66
.long 0xD13B006B, 0x00005B67
.long 0xD3B24004, 0x1802D110
.long 0xD3B24006, 0x1802D512
.long 0xBEC41E3A
.long 0x7ED00304
.long 0x7ED20305
.long 0x7ED40306
.long 0x7ED60307
.long 0xE07C1000, 0x80046856
.long 0xBF800000
.long 0x7EC202FF, 0x80000000
.long 0xD1196A01, 0x00011B01
.long 0x92468D26
.long 0xD1340002, 0x00008D02
.long 0x92468D24
.long 0xD1340003, 0x00008D03
.long 0xD0C90046, 0x00003100
	;; [unrolled: 1-line block ×3, first 2 shown]
.long 0x86CA4A46
.long 0xD1FE0009, 0x020A0102
.long 0xD1000009, 0x012A1361
	;; [unrolled: 1-line block ×5, first 2 shown]
.long 0x24141482
.long 0xD100000A, 0x012A1561
.long 0xD9FE0000, 0x1000000A
.long 0x24160082
.long 0xE05C1000, 0x800F140B
.long 0xD1FE0009, 0x020A0103
	;; [unrolled: 1-line block ×8, first 2 shown]
.long 0x86CA4A46
.long 0xD1FE001C, 0x020A0102
.long 0xD100001C, 0x012A3961
	;; [unrolled: 1-line block ×5, first 2 shown]
.long 0x243A3A82
.long 0xD100001D, 0x012A3B61
.long 0x243C0082
.long 0xD1FE001C, 0x020A0103
.long 0xD100001C, 0x012A3961
	;; [unrolled: 1-line block ×7, first 2 shown]
.long 0x86CA4A46
.long 0xD1FE001F, 0x020A0102
.long 0xD100001F, 0x012A3F61
	;; [unrolled: 1-line block ×5, first 2 shown]
.long 0x24505082
.long 0xD1000028, 0x012A5161
.long 0x24520082
.long 0xD1FE001F, 0x020A0103
.long 0xD100001F, 0x012A3F61
	;; [unrolled: 1-line block ×7, first 2 shown]
.long 0x86CA4A46
.long 0xD1FE002A, 0x020A0102
.long 0xD100002A, 0x012A5561
	;; [unrolled: 1-line block ×5, first 2 shown]
.long 0x24565682
.long 0xD100002B, 0x012A5761
.long 0x24680082
.long 0xD1FE002A, 0x020A0103
.long 0xD100002A, 0x012A5561
	;; [unrolled: 1-line block ×3, first 2 shown]
.long 0x92468D26
.long 0xD1340002, 0x00008D02
.long 0x92468D24
.long 0xD1340003, 0x00008D03
.long 0xD0C90046, 0x00003100
.long 0xD0C9004A, 0x00003301
.long 0x86CA4A46
.long 0xD1FE0035, 0x020A0102
.long 0xD1000035, 0x012A6B61
.long 0xE05C1000, 0x80054035
.long 0x924602FF, 0x00000100
.long 0xD1350036, 0x00008D00
.long 0x246C6C82
.long 0xD1000036, 0x012A6D61
.long 0x246E0082
.long 0xD1FE0035, 0x020A0103
.long 0xD1000035, 0x012A6B61
.long 0xD1196A01, 0x00010301
.long 0xD1340002, 0x00004D02
.long 0xD1340003, 0x00004903
.long 0xD0C90046, 0x00003100
.long 0xD0C9004A, 0x00003301
.long 0x86CA4A46
.long 0xD1FE0048, 0x020A0102
.long 0xD1000048, 0x012A9161
.long 0xE05C1000, 0x80054C48
.long 0x924602FF, 0x00000100
.long 0xD1350049, 0x00008D00
.long 0x24929282
.long 0xD1000049, 0x012A9361
.long 0x24940082
.long 0xD1FE0048, 0x020A0103
.long 0xD1000048, 0x012A9161
.long 0xD1196A01, 0x00010301
.long 0xD1340002, 0x00004D02
	;; [unrolled: 16-line block ×4, first 2 shown]
.long 0xD3D8401A, 0x18000188
.long 0xD3D8401B, 0x1800018C
	;; [unrolled: 1-line block ×30, first 2 shown]
.long 0xBF800001
.long 0x0A30302C
	;; [unrolled: 1-line block ×34, first 2 shown]
.long 0xD0CC0030, 0x0001003E
.long 0xD1000014, 0x00C228F2
.long 0xD1000015, 0x00C22AF2
.long 0xD3B14018, 0x18023114
.long 0xD0CC0030, 0x0001003E
.long 0xD1000016, 0x00C22CF2
.long 0xD1000017, 0x00C22EF2
.long 0xD3B1401A, 0x18023516
.long 0xD13B0018, 0x00005B0C
.long 0xD13B0019, 0x00005B0D
.long 0xD13B001A, 0x00005B0E
.long 0xD13B001B, 0x00005B0F
.long 0xD3B24004, 0x18023110
.long 0xD3B24006, 0x18023512
.long 0xBEC41E3A
.long 0x7E300304
.long 0x7E320305
.long 0x7E340306
.long 0x7E360307
.long 0xE07C1000, 0x80041809
.long 0xD0CC0030, 0x0001003E
.long 0xD1000014, 0x00C228F2
.long 0xD1000015, 0x00C22AF2
.long 0xD3B14024, 0x18024914
.long 0xD0CC0030, 0x0001003E
.long 0xD1000016, 0x00C22CF2
.long 0xD1000017, 0x00C22EF2
.long 0xD3B14026, 0x18024D16
.long 0xD13B0024, 0x00005B20
.long 0xD13B0025, 0x00005B21
.long 0xD13B0026, 0x00005B22
.long 0xD13B0027, 0x00005B23
.long 0xD3B24004, 0x18024910
.long 0xD3B24006, 0x18024D12
.long 0xBEC41E3A
.long 0x7E480304
.long 0x7E4A0305
.long 0x7E4C0306
.long 0x7E4E0307
.long 0xE07C1000, 0x8004241C
	;; [unrolled: 20-line block ×8, first 2 shown]
.long 0xBF800000
.long 0x7EC202FF, 0x80000000
.long 0xD1196A01, 0x00011B01
.long 0x92468D26
.long 0xD1340002, 0x00008D02
.long 0x92468D24
.long 0xD1340003, 0x00008D03
.long 0xD0C90046, 0x00003100
	;; [unrolled: 1-line block ×3, first 2 shown]
.long 0x86CA4A46
.long 0xD1FE0009, 0x020A0102
.long 0xD1000009, 0x012A1361
	;; [unrolled: 1-line block ×5, first 2 shown]
.long 0x24141482
.long 0xD100000A, 0x012A1561
.long 0xD9FE0000, 0x1000000A
.long 0x24160082
.long 0xE05C1000, 0x800F140B
.long 0xD1FE0009, 0x020A0103
	;; [unrolled: 1-line block ×8, first 2 shown]
.long 0x86CA4A46
.long 0xD1FE001C, 0x020A0102
.long 0xD100001C, 0x012A3961
	;; [unrolled: 1-line block ×5, first 2 shown]
.long 0x243A3A82
.long 0xD100001D, 0x012A3B61
.long 0x243C0082
.long 0xD1FE001C, 0x020A0103
.long 0xD100001C, 0x012A3961
	;; [unrolled: 1-line block ×7, first 2 shown]
.long 0x86CA4A46
.long 0xD1FE001F, 0x020A0102
.long 0xD100001F, 0x012A3F61
	;; [unrolled: 1-line block ×5, first 2 shown]
.long 0x24505082
.long 0xD1000028, 0x012A5161
.long 0x24520082
.long 0xD1FE001F, 0x020A0103
.long 0xD100001F, 0x012A3F61
	;; [unrolled: 1-line block ×7, first 2 shown]
.long 0x86CA4A46
.long 0xD1FE002A, 0x020A0102
.long 0xD100002A, 0x012A5561
	;; [unrolled: 1-line block ×5, first 2 shown]
.long 0x24565682
.long 0xD100002B, 0x012A5761
.long 0x24680082
.long 0xD1FE002A, 0x020A0103
.long 0xD100002A, 0x012A5561
	;; [unrolled: 1-line block ×3, first 2 shown]
.long 0x92468D26
.long 0xD1340002, 0x00008D02
.long 0x92468D24
.long 0xD1340003, 0x00008D03
.long 0xD0C90046, 0x00003100
.long 0xD0C9004A, 0x00003301
.long 0x86CA4A46
.long 0xD1FE0035, 0x020A0102
.long 0xD1000035, 0x012A6B61
.long 0xE05C1000, 0x80054035
.long 0x924602FF, 0x00000100
.long 0xD1350036, 0x00008D00
.long 0x246C6C82
.long 0xD1000036, 0x012A6D61
.long 0x246E0082
.long 0xD1FE0035, 0x020A0103
.long 0xD1000035, 0x012A6B61
.long 0xD1196A01, 0x00010301
.long 0xD1340002, 0x00004D02
.long 0xD1340003, 0x00004903
.long 0xD0C90046, 0x00003100
.long 0xD0C9004A, 0x00003301
.long 0x86CA4A46
.long 0xD1FE0048, 0x020A0102
.long 0xD1000048, 0x012A9161
.long 0xE05C1000, 0x80054C48
.long 0x924602FF, 0x00000100
.long 0xD1350049, 0x00008D00
.long 0x24929282
.long 0xD1000049, 0x012A9361
.long 0x24940082
.long 0xD1FE0048, 0x020A0103
.long 0xD1000048, 0x012A9161
.long 0xD1196A01, 0x00010301
.long 0xD1340002, 0x00004D02
	;; [unrolled: 16-line block ×4, first 2 shown]
.long 0xD3D8401A, 0x180001A8
.long 0xD3D8401B, 0x180001AC
	;; [unrolled: 1-line block ×30, first 2 shown]
.long 0xBF800001
.long 0x0A30302C
	;; [unrolled: 1-line block ×34, first 2 shown]
.long 0xD0CC0030, 0x0001003E
.long 0xD1000014, 0x00C228F2
.long 0xD1000015, 0x00C22AF2
.long 0xD3B14018, 0x18023114
.long 0xD0CC0030, 0x0001003E
.long 0xD1000016, 0x00C22CF2
.long 0xD1000017, 0x00C22EF2
.long 0xD3B1401A, 0x18023516
.long 0xD13B0018, 0x00005B0C
.long 0xD13B0019, 0x00005B0D
.long 0xD13B001A, 0x00005B0E
.long 0xD13B001B, 0x00005B0F
.long 0xD3B24004, 0x18023110
.long 0xD3B24006, 0x18023512
.long 0xBEC41E3A
.long 0x7E300304
.long 0x7E320305
.long 0x7E340306
.long 0x7E360307
.long 0xE07C1000, 0x80041809
.long 0xD0CC0030, 0x0001003E
.long 0xD1000014, 0x00C228F2
.long 0xD1000015, 0x00C22AF2
.long 0xD3B14024, 0x18024914
.long 0xD0CC0030, 0x0001003E
.long 0xD1000016, 0x00C22CF2
.long 0xD1000017, 0x00C22EF2
.long 0xD3B14026, 0x18024D16
.long 0xD13B0024, 0x00005B20
.long 0xD13B0025, 0x00005B21
.long 0xD13B0026, 0x00005B22
.long 0xD13B0027, 0x00005B23
.long 0xD3B24004, 0x18024910
.long 0xD3B24006, 0x18024D12
.long 0xBEC41E3A
.long 0x7E480304
.long 0x7E4A0305
.long 0x7E4C0306
.long 0x7E4E0307
.long 0xE07C1000, 0x8004241C
	;; [unrolled: 20-line block ×8, first 2 shown]
.long 0xBF800000
.long 0x7EC202FF, 0x80000000
.long 0xD1196A01, 0x00011B01
.long 0x92468D26
.long 0xD1340002, 0x00008D02
.long 0x92468D24
.long 0xD1340003, 0x00008D03
.long 0xD0C90046, 0x00003100
.long 0xD0C9004A, 0x00003301
.long 0x86CA4A46
.long 0xD1FE0009, 0x020A0102
.long 0xD1000009, 0x012A1361
	;; [unrolled: 1-line block ×5, first 2 shown]
.long 0x24141482
.long 0xD100000A, 0x012A1561
.long 0xD9FE0000, 0x1000000A
.long 0x24160082
.long 0xE05C1000, 0x800F140B
.long 0xD1FE0009, 0x020A0103
	;; [unrolled: 1-line block ×8, first 2 shown]
.long 0x86CA4A46
.long 0xD1FE001C, 0x020A0102
.long 0xD100001C, 0x012A3961
	;; [unrolled: 1-line block ×5, first 2 shown]
.long 0x243A3A82
.long 0xD100001D, 0x012A3B61
.long 0x243C0082
.long 0xD1FE001C, 0x020A0103
.long 0xD100001C, 0x012A3961
	;; [unrolled: 1-line block ×7, first 2 shown]
.long 0x86CA4A46
.long 0xD1FE001F, 0x020A0102
.long 0xD100001F, 0x012A3F61
	;; [unrolled: 1-line block ×5, first 2 shown]
.long 0x24505082
.long 0xD1000028, 0x012A5161
.long 0x24520082
.long 0xD1FE001F, 0x020A0103
.long 0xD100001F, 0x012A3F61
	;; [unrolled: 1-line block ×7, first 2 shown]
.long 0x86CA4A46
.long 0xD1FE002A, 0x020A0102
.long 0xD100002A, 0x012A5561
	;; [unrolled: 1-line block ×5, first 2 shown]
.long 0x24565682
.long 0xD100002B, 0x012A5761
.long 0x24680082
.long 0xD1FE002A, 0x020A0103
.long 0xD100002A, 0x012A5561
	;; [unrolled: 1-line block ×3, first 2 shown]
.long 0x92468D26
.long 0xD1340002, 0x00008D02
.long 0x92468D24
.long 0xD1340003, 0x00008D03
.long 0xD0C90046, 0x00003100
.long 0xD0C9004A, 0x00003301
.long 0x86CA4A46
.long 0xD1FE0035, 0x020A0102
.long 0xD1000035, 0x012A6B61
.long 0xE05C1000, 0x80054035
.long 0x924602FF, 0x00000100
.long 0xD1350036, 0x00008D00
.long 0x246C6C82
.long 0xD1000036, 0x012A6D61
.long 0x246E0082
.long 0xD1FE0035, 0x020A0103
.long 0xD1000035, 0x012A6B61
.long 0xD1196A01, 0x00010301
.long 0xD1340002, 0x00004D02
.long 0xD1340003, 0x00004903
.long 0xD0C90046, 0x00003100
.long 0xD0C9004A, 0x00003301
.long 0x86CA4A46
.long 0xD1FE0048, 0x020A0102
.long 0xD1000048, 0x012A9161
.long 0xE05C1000, 0x80054C48
.long 0x924602FF, 0x00000100
.long 0xD1350049, 0x00008D00
.long 0x24929282
.long 0xD1000049, 0x012A9361
.long 0x24940082
.long 0xD1FE0048, 0x020A0103
.long 0xD1000048, 0x012A9161
.long 0xD1196A01, 0x00010301
.long 0xD1340002, 0x00004D02
	;; [unrolled: 16-line block ×4, first 2 shown]
.long 0xD3D8401A, 0x180001C8
.long 0xD3D8401B, 0x180001CC
	;; [unrolled: 1-line block ×30, first 2 shown]
.long 0xBF800001
.long 0x0A30302C
	;; [unrolled: 1-line block ×34, first 2 shown]
.long 0xD0CC0030, 0x0001003E
.long 0xD1000014, 0x00C228F2
.long 0xD1000015, 0x00C22AF2
.long 0xD3B14018, 0x18023114
.long 0xD0CC0030, 0x0001003E
.long 0xD1000016, 0x00C22CF2
.long 0xD1000017, 0x00C22EF2
.long 0xD3B1401A, 0x18023516
.long 0xD13B0018, 0x00005B0C
.long 0xD13B0019, 0x00005B0D
.long 0xD13B001A, 0x00005B0E
.long 0xD13B001B, 0x00005B0F
.long 0xD3B24004, 0x18023110
.long 0xD3B24006, 0x18023512
.long 0xBEC41E3A
.long 0x7E300304
.long 0x7E320305
.long 0x7E340306
.long 0x7E360307
.long 0xE07C1000, 0x80041809
.long 0xD0CC0030, 0x0001003E
.long 0xD1000014, 0x00C228F2
.long 0xD1000015, 0x00C22AF2
.long 0xD3B14024, 0x18024914
.long 0xD0CC0030, 0x0001003E
.long 0xD1000016, 0x00C22CF2
.long 0xD1000017, 0x00C22EF2
.long 0xD3B14026, 0x18024D16
.long 0xD13B0024, 0x00005B20
.long 0xD13B0025, 0x00005B21
.long 0xD13B0026, 0x00005B22
.long 0xD13B0027, 0x00005B23
.long 0xD3B24004, 0x18024910
.long 0xD3B24006, 0x18024D12
.long 0xBEC41E3A
.long 0x7E480304
.long 0x7E4A0305
.long 0x7E4C0306
.long 0x7E4E0307
.long 0xE07C1000, 0x8004241C
	;; [unrolled: 20-line block ×8, first 2 shown]
.long 0xBF800000
.long 0x7EC202FF, 0x80000000
.long 0xD1196A01, 0x00011B01
.long 0x92468D26
.long 0xD1340002, 0x00008D02
.long 0x92468D24
.long 0xD1340003, 0x00008D03
.long 0xD0C90046, 0x00003100
	;; [unrolled: 1-line block ×3, first 2 shown]
.long 0x86CA4A46
.long 0xD1FE0009, 0x020A0102
.long 0xD1000009, 0x012A1361
	;; [unrolled: 1-line block ×5, first 2 shown]
.long 0x24141482
.long 0xD100000A, 0x012A1561
.long 0xD9FE0000, 0x1000000A
.long 0x24160082
.long 0xE05C1000, 0x800F140B
.long 0xD1FE0009, 0x020A0103
.long 0xD1000009, 0x012A1361
.long 0xD1196A01, 0x00010301
.long 0xD1340002, 0x00004D02
.long 0xD1340003, 0x00004903
.long 0xD0C90046, 0x00003100
.long 0xD0C9004A, 0x00003301
.long 0x86CA4A46
.long 0xD1FE001C, 0x020A0102
.long 0xD100001C, 0x012A3961
	;; [unrolled: 1-line block ×5, first 2 shown]
.long 0x243A3A82
.long 0xD100001D, 0x012A3B61
.long 0x243C0082
.long 0xD1FE001C, 0x020A0103
.long 0xD100001C, 0x012A3961
	;; [unrolled: 1-line block ×7, first 2 shown]
.long 0x86CA4A46
.long 0xD1FE001F, 0x020A0102
.long 0xD100001F, 0x012A3F61
	;; [unrolled: 1-line block ×5, first 2 shown]
.long 0x24505082
.long 0xD1000028, 0x012A5161
.long 0x24520082
.long 0xD1FE001F, 0x020A0103
.long 0xD100001F, 0x012A3F61
	;; [unrolled: 1-line block ×7, first 2 shown]
.long 0x86CA4A46
.long 0xD1FE002A, 0x020A0102
.long 0xD100002A, 0x012A5561
	;; [unrolled: 1-line block ×5, first 2 shown]
.long 0x24565682
.long 0xD100002B, 0x012A5761
.long 0x24680082
.long 0xD1FE002A, 0x020A0103
.long 0xD100002A, 0x012A5561
	;; [unrolled: 1-line block ×3, first 2 shown]
.long 0x92468D26
.long 0xD1340002, 0x00008D02
.long 0x92468D24
.long 0xD1340003, 0x00008D03
.long 0xD0C90046, 0x00003100
.long 0xD0C9004A, 0x00003301
.long 0x86CA4A46
.long 0xD1FE0035, 0x020A0102
.long 0xD1000035, 0x012A6B61
.long 0xE05C1000, 0x80054035
.long 0x924602FF, 0x00000100
.long 0xD1350036, 0x00008D00
.long 0x246C6C82
.long 0xD1000036, 0x012A6D61
.long 0x246E0082
.long 0xD1FE0035, 0x020A0103
.long 0xD1000035, 0x012A6B61
.long 0xD1196A01, 0x00010301
.long 0xD1340002, 0x00004D02
.long 0xD1340003, 0x00004903
.long 0xD0C90046, 0x00003100
.long 0xD0C9004A, 0x00003301
.long 0x86CA4A46
.long 0xD1FE0048, 0x020A0102
.long 0xD1000048, 0x012A9161
.long 0xE05C1000, 0x80054C48
.long 0x924602FF, 0x00000100
.long 0xD1350049, 0x00008D00
.long 0x24929282
.long 0xD1000049, 0x012A9361
.long 0x24940082
.long 0xD1FE0048, 0x020A0103
.long 0xD1000048, 0x012A9161
.long 0xD1196A01, 0x00010301
.long 0xD1340002, 0x00004D02
	;; [unrolled: 16-line block ×4, first 2 shown]
.long 0xD3D8401A, 0x180001E8
.long 0xD3D8401B, 0x180001EC
	;; [unrolled: 1-line block ×30, first 2 shown]
.long 0xBF800001
.long 0x0A30302C
	;; [unrolled: 1-line block ×34, first 2 shown]
.long 0xD0CC0030, 0x0001003E
.long 0xD1000014, 0x00C228F2
.long 0xD1000015, 0x00C22AF2
.long 0xD3B14018, 0x18023114
.long 0xD0CC0030, 0x0001003E
.long 0xD1000016, 0x00C22CF2
.long 0xD1000017, 0x00C22EF2
.long 0xD3B1401A, 0x18023516
.long 0xD13B0018, 0x00005B0C
.long 0xD13B0019, 0x00005B0D
.long 0xD13B001A, 0x00005B0E
.long 0xD13B001B, 0x00005B0F
.long 0xD3B24004, 0x18023110
.long 0xD3B24006, 0x18023512
.long 0xBEC41E3A
.long 0x7E300304
.long 0x7E320305
.long 0x7E340306
.long 0x7E360307
.long 0xE07C1000, 0x80041809
.long 0xD0CC0030, 0x0001003E
.long 0xD1000014, 0x00C228F2
.long 0xD1000015, 0x00C22AF2
.long 0xD3B14024, 0x18024914
.long 0xD0CC0030, 0x0001003E
.long 0xD1000016, 0x00C22CF2
.long 0xD1000017, 0x00C22EF2
.long 0xD3B14026, 0x18024D16
.long 0xD13B0024, 0x00005B20
.long 0xD13B0025, 0x00005B21
.long 0xD13B0026, 0x00005B22
.long 0xD13B0027, 0x00005B23
.long 0xD3B24004, 0x18024910
.long 0xD3B24006, 0x18024D12
.long 0xBEC41E3A
.long 0x7E480304
.long 0x7E4A0305
.long 0x7E4C0306
.long 0x7E4E0307
.long 0xE07C1000, 0x8004241C
	;; [unrolled: 20-line block ×8, first 2 shown]
.long 0xBF800000
.long 0x7EC202FF, 0x80000000
.long 0xD1196A01, 0x00011B01
.long 0x92468D26
.long 0xD1340002, 0x00008D02
.long 0x92468D24
.long 0xD1340003, 0x00008D03
.long 0xD0C90046, 0x00003100
	;; [unrolled: 1-line block ×3, first 2 shown]
.long 0x86CA4A46
.long 0xD1FE0009, 0x020A0102
.long 0xD1000009, 0x012A1361
	;; [unrolled: 1-line block ×5, first 2 shown]
.long 0x24141482
.long 0xD100000A, 0x012A1561
.long 0xD9FE0000, 0x1000000A
.long 0x24160082
.long 0xE05C1000, 0x800F140B
.long 0xD1FE0009, 0x020A0103
	;; [unrolled: 1-line block ×8, first 2 shown]
.long 0x86CA4A46
.long 0xD1FE001C, 0x020A0102
.long 0xD100001C, 0x012A3961
	;; [unrolled: 1-line block ×5, first 2 shown]
.long 0x243A3A82
.long 0xD100001D, 0x012A3B61
.long 0x243C0082
.long 0xD1FE001C, 0x020A0103
.long 0xD100001C, 0x012A3961
	;; [unrolled: 1-line block ×7, first 2 shown]
.long 0x86CA4A46
.long 0xD1FE001F, 0x020A0102
.long 0xD100001F, 0x012A3F61
	;; [unrolled: 1-line block ×5, first 2 shown]
.long 0x24505082
.long 0xD1000028, 0x012A5161
.long 0x24520082
.long 0xD1FE001F, 0x020A0103
.long 0xD100001F, 0x012A3F61
	;; [unrolled: 1-line block ×7, first 2 shown]
.long 0x86CA4A46
.long 0xD1FE002A, 0x020A0102
.long 0xD100002A, 0x012A5561
	;; [unrolled: 1-line block ×5, first 2 shown]
.long 0x24565682
.long 0xD100002B, 0x012A5761
.long 0x24680082
.long 0xD1FE002A, 0x020A0103
.long 0xD100002A, 0x012A5561
.long 0xD1196A01, 0x00011B01
.long 0x92468D26
.long 0xD1340002, 0x00008D02
.long 0x92468D24
.long 0xD1340003, 0x00008D03
.long 0xD0C90046, 0x00003100
.long 0xD0C9004A, 0x00003301
.long 0x86CA4A46
.long 0xD1FE0035, 0x020A0102
.long 0xD1000035, 0x012A6B61
.long 0xE05C1000, 0x80054035
.long 0x924602FF, 0x00000100
.long 0xD1350036, 0x00008D00
.long 0x246C6C82
.long 0xD1000036, 0x012A6D61
.long 0x246E0082
.long 0xD1FE0035, 0x020A0103
.long 0xD1000035, 0x012A6B61
.long 0xD1196A01, 0x00010301
.long 0xD1340002, 0x00004D02
.long 0xD1340003, 0x00004903
.long 0xD0C90046, 0x00003100
.long 0xD0C9004A, 0x00003301
.long 0x86CA4A46
.long 0xD1FE0048, 0x020A0102
.long 0xD1000048, 0x012A9161
.long 0xE05C1000, 0x80054C48
.long 0x924602FF, 0x00000100
.long 0xD1350049, 0x00008D00
.long 0x24929282
.long 0xD1000049, 0x012A9361
.long 0x24940082
.long 0xD1FE0048, 0x020A0103
.long 0xD1000048, 0x012A9161
.long 0xD1196A01, 0x00010301
.long 0xD1340002, 0x00004D02
	;; [unrolled: 16-line block ×3, first 2 shown]
.long 0xD1340003, 0x00004903
.long 0xD0C90046, 0x00003100
	;; [unrolled: 1-line block ×3, first 2 shown]
.long 0x86CA4A46
.long 0xD1FE0056, 0x020A0102
.long 0xD1000056, 0x012AAD61
	;; [unrolled: 1-line block ×5, first 2 shown]
.long 0x24AEAE82
.long 0xD1000057, 0x012AAF61
.long 0x24C00082
.long 0xD1FE0056, 0x020A0103
.long 0xD1000056, 0x012AAD61
.long 0x7E3003C0
.long 0x7E3203C4
	;; [unrolled: 1-line block ×66, first 2 shown]
.long 0xD0CC0030, 0x0001003E
.long 0xD1000014, 0x00C228F2
.long 0xD1000015, 0x00C22AF2
.long 0xD3B14018, 0x18023114
.long 0xD0CC0030, 0x0001003E
.long 0xD1000016, 0x00C22CF2
.long 0xD1000017, 0x00C22EF2
.long 0xD3B1401A, 0x18023516
.long 0xD13B0018, 0x00005B0C
.long 0xD13B0019, 0x00005B0D
.long 0xD13B001A, 0x00005B0E
.long 0xD13B001B, 0x00005B0F
.long 0xD3B24004, 0x18023110
.long 0xD3B24006, 0x18023512
.long 0xBEC41E3A
.long 0x7E300304
.long 0x7E320305
.long 0x7E340306
.long 0x7E360307
.long 0xE07C1000, 0x80041809
.long 0xD0CC0030, 0x0001003E
.long 0xD1000014, 0x00C228F2
.long 0xD1000015, 0x00C22AF2
.long 0xD3B14024, 0x18024914
.long 0xD0CC0030, 0x0001003E
.long 0xD1000016, 0x00C22CF2
.long 0xD1000017, 0x00C22EF2
.long 0xD3B14026, 0x18024D16
.long 0xD13B0024, 0x00005B20
.long 0xD13B0025, 0x00005B21
.long 0xD13B0026, 0x00005B22
.long 0xD13B0027, 0x00005B23
.long 0xD3B24004, 0x18024910
.long 0xD3B24006, 0x18024D12
.long 0xBEC41E3A
.long 0x7E480304
.long 0x7E4A0305
.long 0x7E4C0306
.long 0x7E4E0307
.long 0xE07C1000, 0x8004241C
	;; [unrolled: 20-line block ×8, first 2 shown]
.long 0xBF800000
.long 0x7EC202FF, 0x80000000
.long 0xD1196A01, 0x00011B01
.long 0x92468D26
.long 0xD1340002, 0x00008D02
.long 0x92468D24
.long 0xD1340003, 0x00008D03
.long 0xD0C90046, 0x00003100
	;; [unrolled: 1-line block ×3, first 2 shown]
.long 0x86CA4A46
.long 0xD1FE0009, 0x020A0102
.long 0xD1000009, 0x012A1361
	;; [unrolled: 1-line block ×5, first 2 shown]
.long 0x24141482
.long 0xD100000A, 0x012A1561
.long 0xD9FE0000, 0x1000000A
.long 0x24160082
.long 0xE05C1000, 0x800F140B
.long 0xD1FE0009, 0x020A0103
	;; [unrolled: 1-line block ×8, first 2 shown]
.long 0x86CA4A46
.long 0xD1FE001C, 0x020A0102
.long 0xD100001C, 0x012A3961
	;; [unrolled: 1-line block ×5, first 2 shown]
.long 0x243A3A82
.long 0xD100001D, 0x012A3B61
.long 0x243C0082
.long 0xD1FE001C, 0x020A0103
.long 0xD100001C, 0x012A3961
	;; [unrolled: 1-line block ×7, first 2 shown]
.long 0x86CA4A46
.long 0xD1FE001F, 0x020A0102
.long 0xD100001F, 0x012A3F61
	;; [unrolled: 1-line block ×5, first 2 shown]
.long 0x24505082
.long 0xD1000028, 0x012A5161
.long 0x24520082
.long 0xD1FE001F, 0x020A0103
.long 0xD100001F, 0x012A3F61
	;; [unrolled: 1-line block ×7, first 2 shown]
.long 0x86CA4A46
.long 0xD1FE002A, 0x020A0102
.long 0xD100002A, 0x012A5561
	;; [unrolled: 1-line block ×5, first 2 shown]
.long 0x24565682
.long 0xD100002B, 0x012A5761
.long 0x24680082
.long 0xD1FE002A, 0x020A0103
.long 0xD100002A, 0x012A5561
	;; [unrolled: 1-line block ×3, first 2 shown]
.long 0x92468D26
.long 0xD1340002, 0x00008D02
.long 0x92468D24
.long 0xD1340003, 0x00008D03
.long 0xD0C90046, 0x00003100
.long 0xD0C9004A, 0x00003301
.long 0x86CA4A46
.long 0xD1FE0035, 0x020A0102
.long 0xD1000035, 0x012A6B61
.long 0xE05C1000, 0x80054035
.long 0x924602FF, 0x00000100
.long 0xD1350036, 0x00008D00
.long 0x246C6C82
.long 0xD1000036, 0x012A6D61
.long 0x246E0082
.long 0xD1FE0035, 0x020A0103
.long 0xD1000035, 0x012A6B61
.long 0xD1196A01, 0x00010301
.long 0xD1340002, 0x00004D02
.long 0xD1340003, 0x00004903
.long 0xD0C90046, 0x00003100
.long 0xD0C9004A, 0x00003301
.long 0x86CA4A46
.long 0xD1FE0048, 0x020A0102
.long 0xD1000048, 0x012A9161
.long 0xE05C1000, 0x80054C48
.long 0x924602FF, 0x00000100
.long 0xD1350049, 0x00008D00
.long 0x24929282
.long 0xD1000049, 0x012A9361
.long 0x24940082
.long 0xD1FE0048, 0x020A0103
.long 0xD1000048, 0x012A9161
.long 0xD1196A01, 0x00010301
.long 0xD1340002, 0x00004D02
	;; [unrolled: 16-line block ×3, first 2 shown]
.long 0xD1340003, 0x00004903
.long 0xD0C90046, 0x00003100
.long 0xD0C9004A, 0x00003301
.long 0x86CA4A46
.long 0xD1FE0056, 0x020A0102
.long 0xD1000056, 0x012AAD61
	;; [unrolled: 1-line block ×5, first 2 shown]
.long 0x24AEAE82
.long 0xD1000057, 0x012AAF61
.long 0x24C00082
.long 0xD1FE0056, 0x020A0103
.long 0xD1000056, 0x012AAD61
.long 0x7E3003E0
.long 0x7E3203E4
	;; [unrolled: 1-line block ×66, first 2 shown]
.long 0xD0CC0030, 0x0001003E
.long 0xD1000014, 0x00C228F2
.long 0xD1000015, 0x00C22AF2
.long 0xD3B14018, 0x18023114
.long 0xD0CC0030, 0x0001003E
.long 0xD1000016, 0x00C22CF2
.long 0xD1000017, 0x00C22EF2
.long 0xD3B1401A, 0x18023516
.long 0xD13B0018, 0x00005B0C
.long 0xD13B0019, 0x00005B0D
.long 0xD13B001A, 0x00005B0E
.long 0xD13B001B, 0x00005B0F
.long 0xD3B24004, 0x18023110
.long 0xD3B24006, 0x18023512
.long 0xBEC41E3A
.long 0x7E300304
.long 0x7E320305
.long 0x7E340306
.long 0x7E360307
.long 0xE07C1000, 0x80041809
.long 0xD0CC0030, 0x0001003E
.long 0xD1000014, 0x00C228F2
.long 0xD1000015, 0x00C22AF2
.long 0xD3B14024, 0x18024914
.long 0xD0CC0030, 0x0001003E
.long 0xD1000016, 0x00C22CF2
.long 0xD1000017, 0x00C22EF2
.long 0xD3B14026, 0x18024D16
.long 0xD13B0024, 0x00005B20
.long 0xD13B0025, 0x00005B21
.long 0xD13B0026, 0x00005B22
.long 0xD13B0027, 0x00005B23
.long 0xD3B24004, 0x18024910
.long 0xD3B24006, 0x18024D12
.long 0xBEC41E3A
.long 0x7E480304
.long 0x7E4A0305
.long 0x7E4C0306
.long 0x7E4E0307
.long 0xE07C1000, 0x8004241C
	;; [unrolled: 20-line block ×8, first 2 shown]
.long 0xBF800000
.long 0xBF820000
	;; [unrolled: 1-line block ×4, first 2 shown]
.long 0x260808FF, 0x7FFFFFFF
.long 0x260A0AFF, 0x7FFFFFFF
	;; [unrolled: 1-line block ×4, first 2 shown]
.long 0xBE801D44
.long 0xD044006A, 0x00006D04
.long 0x14080837
.long 0x00080880
.long 0xD044006A, 0x00006D05
.long 0x140A0A37
	;; [unrolled: 3-line block ×4, first 2 shown]
.long 0x000E0E80
.long 0xBE801D44
.long 0x0A1008FF, 0x3D372713
.long 0xD1CB0008, 0x03CA1104
.long 0x0A101104
.long 0x0A1010FF, 0x40135761
.long 0x7E104108
.long 0xBF800000
.long 0x021010F2
.long 0x7E104508
.long 0xBF800000
.long 0xD1CB0008, 0x03D210F5
.long 0x0A101104
.long 0x0A0810F0
.long 0x0A100AFF, 0x3D372713
.long 0xD1CB0008, 0x03CA1105
.long 0x0A101105
.long 0x0A1010FF, 0x40135761
.long 0x7E104108
.long 0xBF800000
.long 0x021010F2
.long 0x7E104508
.long 0xBF800000
.long 0xD1CB0008, 0x03D210F5
	;; [unrolled: 12-line block ×4, first 2 shown]
.long 0x0A101107
.long 0x0A0E10F0
	;; [unrolled: 1-line block ×4, first 2 shown]
.long 0xD046006A, 0x00010104
.long 0x00080908
.long 0x0A100A36
.long 0xD046006A, 0x00010105
.long 0x000A0B08
.long 0x0A100C36
	;; [unrolled: 3-line block ×4, first 2 shown]
.long 0xD10B0004, 0x00010104
.long 0xD10B0005, 0x00010105
	;; [unrolled: 1-line block ×4, first 2 shown]
.long 0xBE801D44
.long 0x0A0808FF, 0xBFB8AA3B
.long 0x7E084104
.long 0xBF800000
.long 0x020808F2
.long 0x7E084504
.long 0xBF800000
.long 0x0A0A0AFF, 0xBFB8AA3B
.long 0x7E0A4105
.long 0xBF800000
.long 0x020A0AF2
.long 0x7E0A4505
.long 0xBF800000
.long 0x0A0C0CFF, 0xBFB8AA3B
.long 0x7E0C4106
.long 0xBF800000
.long 0x020C0CF2
.long 0x7E0C4506
.long 0xBF800000
.long 0x0A0E0EFF, 0xBFB8AA3B
.long 0x7E0E4107
.long 0xBF800000
.long 0x020E0EF2
.long 0x7E0E4507
.long 0xBF800000
.long 0xBE801D44
	;; [unrolled: 1-line block ×3, first 2 shown]
.long 0x0A0808FF, 0x4038AA3B
.long 0x7E084104
.long 0xBF800000
.long 0x020808F2
.long 0x7E084504
.long 0xBF800000
.long 0xD1CB0004, 0x03CA08F5
.long 0x0A080837
.long 0x0A0A0A36
.long 0x0A0A0AFF, 0x4038AA3B
.long 0x7E0A4105
.long 0xBF800000
.long 0x020A0AF2
.long 0x7E0A4505
.long 0xBF800000
.long 0xD1CB0005, 0x03CA0AF5
.long 0x0A0A0A37
.long 0x0A0C0C36
	;; [unrolled: 9-line block ×4, first 2 shown]
.long 0x0A1008FF, 0x3D372713
.long 0xD1CB0008, 0x03CA1104
.long 0x0A101104
.long 0x0A1010FF, 0x40135761
.long 0x7E104108
.long 0xBF800000
.long 0x021010F2
.long 0x7E104508
.long 0xBF800000
.long 0xD1CB0008, 0x03D210F5
.long 0x0A101104
.long 0x0A1010F0
.long 0x0A081036
.long 0x0A100AFF, 0x3D372713
.long 0xD1CB0008, 0x03CA1105
.long 0x0A101105
.long 0x0A1010FF, 0x40135761
.long 0x7E104108
.long 0xBF800000
.long 0x021010F2
.long 0x7E104508
.long 0xBF800000
.long 0xD1CB0008, 0x03D210F5
.long 0x0A101105
.long 0x0A1010F0
.long 0x0A0A1036
	;; [unrolled: 13-line block ×4, first 2 shown]
.long 0xBE801D44
.long 0xBF810000
